;; amdgpu-corpus repo=ROCm/aiter kind=harvested arch=n/a opt=n/a

/root/src/amdgpu-assembly/repos/ROCm__aiter/hsa/gfx950/fp8gemm_blockscale/fp8gemm_bf16_blockscale_BpreShuffle_80x128.co:	file format elf64-amdgpu

Disassembly of section .text:

0000000000002300 <_ZN5aiter42fp8gemm_bf16_blockscale_BpreShuffle_80x128E>:
	s_and_b32 s1, s1, 0xffff                                   // 000000002300: 8601FF01 0000FFFF
	s_load_dwordx2 s[16:17], s[0:1], 0x0                       // 000000002308: C0060400 00000000
	s_load_dwordx2 s[4:5], s[0:1], 0x10                        // 000000002310: C0060100 00000010
	s_load_dwordx2 s[8:9], s[0:1], 0x20                        // 000000002318: C0060200 00000020
	s_load_dwordx2 s[20:21], s[0:1], 0x30                      // 000000002320: C0060500 00000030
	s_load_dwordx2 s[24:25], s[0:1], 0x40                      // 000000002328: C0060600 00000040
	s_load_dwordx2 s[28:29], s[0:1], 0x50                      // 000000002330: C0060700 00000050
	s_load_dword s32, s[0:1], 0x60                             // 000000002338: C0020800 00000060
	s_load_dword s33, s[0:1], 0x70                             // 000000002340: C0020840 00000070
	s_load_dword s34, s[0:1], 0x80                             // 000000002348: C0020880 00000080
	s_load_dword s35, s[0:1], 0x90                             // 000000002350: C00208C0 00000090
	s_load_dword s36, s[0:1], 0xa0                             // 000000002358: C0020900 000000A0
	s_load_dword s37, s[0:1], 0xb0                             // 000000002360: C0020940 000000B0
	s_load_dword s38, s[0:1], 0xc0                             // 000000002368: C0020980 000000C0
	s_load_dword s39, s[0:1], 0xd0                             // 000000002370: C00209C0 000000D0
	s_load_dword s40, s[0:1], 0xe0                             // 000000002378: C0020A00 000000E0
	s_load_dword s41, s[0:1], 0xf0                             // 000000002380: C0020A40 000000F0
	v_lshrrev_b32_e32 v1, 10, v0                               // 000000002388: 2002008A
	v_lshrrev_b32_e32 v2, 10, v1                               // 00000000238C: 2004028A
	v_and_b32_e32 v2, 0x3ff, v2                                // 000000002390: 260404FF 000003FF
	v_and_b32_e32 v1, 0x3ff, v1                                // 000000002398: 260202FF 000003FF
	v_and_b32_e32 v0, 0x3ff, v0                                // 0000000023A0: 260000FF 000003FF
	v_lshrrev_b32_e32 v3, 6, v0                                // 0000000023A8: 20060086
	v_and_b32_e32 v0, 63, v0                                   // 0000000023AC: 260000BF
	s_mov_b32 s44, s2                                          // 0000000023B0: BEAC0002
	s_mov_b32 s45, s3                                          // 0000000023B4: BEAD0003
	s_waitcnt lgkmcnt(0)                                       // 0000000023B8: BF8CC07F
	v_readfirstlane_b32 s47, v3                                // 0000000023BC: 7E5E0503
	s_mov_b32 s6, 0x80000000                                   // 0000000023C0: BE8600FF 80000000
	s_mov_b32 s10, 0x80000000                                  // 0000000023C8: BE8A00FF 80000000
	s_mov_b32 s22, 0x80000000                                  // 0000000023D0: BE9600FF 80000000
	s_mov_b32 s26, 0x80000000                                  // 0000000023D8: BE9A00FF 80000000
	s_mov_b32 s30, 0x80000000                                  // 0000000023E0: BE9E00FF 80000000
	s_mov_b32 s7, 0x20000                                      // 0000000023E8: BE8700FF 00020000
	s_mov_b32 s11, 0x20000                                     // 0000000023F0: BE8B00FF 00020000
	s_mov_b32 s23, 0x20000                                     // 0000000023F8: BE9700FF 00020000
	s_mov_b32 s27, 0x20000                                     // 000000002400: BE9B00FF 00020000
	s_mov_b32 s31, 0x20000                                     // 000000002408: BE9F00FF 00020000
	s_and_b32 s5, s5, 0xffff                                   // 000000002410: 8605FF05 0000FFFF
	s_and_b32 s9, s9, 0xffff                                   // 000000002418: 8609FF09 0000FFFF
	s_and_b32 s21, s21, 0xffff                                 // 000000002420: 8615FF15 0000FFFF
	s_and_b32 s25, s25, 0xffff                                 // 000000002428: 8619FF19 0000FFFF
	s_and_b32 s29, s29, 0xffff                                 // 000000002430: 861DFF1D 0000FFFF
	s_or_b32 s5, s5, 0x40000                                   // 000000002438: 8705FF05 00040000
	s_or_b32 s9, s9, 0x40000                                   // 000000002440: 8709FF09 00040000
	s_or_b32 s21, s21, 0x40000                                 // 000000002448: 8715FF15 00040000
	s_or_b32 s25, s25, 0x40000                                 // 000000002450: 8719FF19 00040000
	s_or_b32 s29, s29, 0x40000                                 // 000000002458: 871DFF1D 00040000
	s_mov_b32 s61, s44                                         // 000000002460: BEBD002C
	s_mov_b32 s62, s38                                         // 000000002464: BEBE0026
	v_cvt_f32_u32_e32 v4, s62                                  // 000000002468: 7E080C3E
	s_sub_i32 s50, 0, s62                                      // 00000000246C: 81B23E80
	v_rcp_iflag_f32_e32 v4, v4                                 // 000000002470: 7E084704
	s_nop 0                                                    // 000000002474: BF800000
	v_mul_f32_e32 v4, 0x4f7ffffe, v4                           // 000000002478: 0A0808FF 4F7FFFFE
	v_cvt_u32_f32_e32 v4, v4                                   // 000000002480: 7E080F04
	v_mul_lo_u32 v5, s50, v4                                   // 000000002484: D2850005 00020832
	v_mul_hi_u32 v5, v4, v5                                    // 00000000248C: D2860005 00020B04
	v_add_u32_e32 v4, v4, v5                                   // 000000002494: 68080B04
	v_mul_hi_u32 v4, s61, v4                                   // 000000002498: D2860004 0002083D
	v_mul_lo_u32 v5, v4, s62                                   // 0000000024A0: D2850005 00007D04
	v_sub_u32_e32 v7, s61, v5                                  // 0000000024A8: 6A0E0A3D
	v_add_u32_e32 v6, 1, v4                                    // 0000000024AC: 680C0881
	v_cmp_le_u32_e32 vcc, s62, v7                              // 0000000024B0: 7D960E3E
	v_subrev_u32_e32 v5, s62, v7                               // 0000000024B4: 6C0A0E3E
	s_nop 0                                                    // 0000000024B8: BF800000
	v_cndmask_b32_e32 v4, v4, v6, vcc                          // 0000000024BC: 00080D04
	v_cndmask_b32_e32 v7, v7, v5, vcc                          // 0000000024C0: 000E0B07
	v_add_u32_e32 v5, 1, v4                                    // 0000000024C4: 680A0881
	v_cmp_le_u32_e32 vcc, s62, v7                              // 0000000024C8: 7D960E3E
	s_nop 1                                                    // 0000000024CC: BF800001
	v_cndmask_b32_e32 v7, v4, v5, vcc                          // 0000000024D0: 000E0B04
	s_nop 3                                                    // 0000000024D4: BF800003
	v_readfirstlane_b32 s63, v7                                // 0000000024D8: 7E7E0507
	s_nop 3                                                    // 0000000024DC: BF800003
	s_mov_b32 s44, s63                                         // 0000000024E0: BEAC003F
	s_mul_i32 s50, s44, s38                                    // 0000000024E4: 9232262C
	s_sub_u32 s75, s61, s50                                    // 0000000024E8: 80CB323D
	s_mov_b32 s61, s34                                         // 0000000024EC: BEBD0022
	s_mov_b32 s62, s38                                         // 0000000024F0: BEBE0026
	v_cvt_f32_u32_e32 v4, s62                                  // 0000000024F4: 7E080C3E
	s_sub_i32 s50, 0, s62                                      // 0000000024F8: 81B23E80
	v_rcp_iflag_f32_e32 v4, v4                                 // 0000000024FC: 7E084704
	s_nop 0                                                    // 000000002500: BF800000
	v_mul_f32_e32 v4, 0x4f7ffffe, v4                           // 000000002504: 0A0808FF 4F7FFFFE
	v_cvt_u32_f32_e32 v4, v4                                   // 00000000250C: 7E080F04
	v_mul_lo_u32 v5, s50, v4                                   // 000000002510: D2850005 00020832
	v_mul_hi_u32 v5, v4, v5                                    // 000000002518: D2860005 00020B04
	v_add_u32_e32 v4, v4, v5                                   // 000000002520: 68080B04
	v_mul_hi_u32 v4, s61, v4                                   // 000000002524: D2860004 0002083D
	v_mul_lo_u32 v5, v4, s62                                   // 00000000252C: D2850005 00007D04
	v_sub_u32_e32 v7, s61, v5                                  // 000000002534: 6A0E0A3D
	v_add_u32_e32 v6, 1, v4                                    // 000000002538: 680C0881
	v_cmp_le_u32_e32 vcc, s62, v7                              // 00000000253C: 7D960E3E
	v_subrev_u32_e32 v5, s62, v7                               // 000000002540: 6C0A0E3E
	s_nop 0                                                    // 000000002544: BF800000
	v_cndmask_b32_e32 v4, v4, v6, vcc                          // 000000002548: 00080D04
	v_cndmask_b32_e32 v7, v7, v5, vcc                          // 00000000254C: 000E0B07
	v_add_u32_e32 v5, 1, v4                                    // 000000002550: 680A0881
	v_cmp_le_u32_e32 vcc, s62, v7                              // 000000002554: 7D960E3E
	s_nop 1                                                    // 000000002558: BF800001
	v_cndmask_b32_e32 v7, v4, v5, vcc                          // 00000000255C: 000E0B04
	s_nop 3                                                    // 000000002560: BF800003
	v_readfirstlane_b32 s63, v7                                // 000000002564: 7E7E0507
	s_nop 3                                                    // 000000002568: BF800003
	s_add_u32 s63, 0x7f, s63                                   // 00000000256C: 803F3FFF 0000007F
	s_lshr_b32 s63, s63, 7                                     // 000000002574: 8F3F873F
	s_lshl_b32 s76, s63, 7                                     // 000000002578: 8E4C873F
	s_mul_i32 s51, s76, s75                                    // 00000000257C: 92334B4C
	s_sub_i32 s50, s34, s51                                    // 000000002580: 81B23322
	s_cmp_lt_i32 s50, s76                                      // 000000002584: BF044C32
	s_cselect_b32 s34, s50, s76                                // 000000002588: 85224C32
	s_mul_i32 s50, s45, 0x50                                   // 00000000258C: 9232FF2D 00000050
	s_mul_i32 s51, s50, s37                                    // 000000002594: 92332532
	s_mul_hi_u32 s52, s50, s37                                 // 000000002598: 96342532
	s_add_u32 s16, s16, s51                                    // 00000000259C: 80103310
	s_addc_u32 s17, s17, s52                                   // 0000000025A0: 82113411
	s_mul_i32 s50, s44, 0x80                                   // 0000000025A4: 9232FF2C 00000080
	s_mul_i32 s51, s50, 2                                      // 0000000025AC: 92338232
	s_mul_hi_u32 s52, s50, 2                                   // 0000000025B0: 96348232
	s_add_u32 s16, s16, s51                                    // 0000000025B4: 80103310
	s_addc_u32 s17, s17, s52                                   // 0000000025B8: 82113411
	s_mov_b32 s80, s16                                         // 0000000025BC: BED00010
	s_mov_b32 s81, s17                                         // 0000000025C0: BED10011
	s_mul_i32 s50, s45, 0x50                                   // 0000000025C4: 9232FF2D 00000050
	s_sub_i32 s51, s32, s50                                    // 0000000025CC: 81B33220
	s_cmp_lt_u32 s51, 0x50                                     // 0000000025D0: BF0AFF33 00000050
	s_cselect_b32 s50, s51, 0x50                               // 0000000025D8: 8532FF33 00000050
	s_mul_i32 s51, s50, s37                                    // 0000000025E0: 92332532
	s_mov_b32 s18, s51                                         // 0000000025E4: BE920033
	s_mov_b32 s82, 0x80000000                                  // 0000000025E8: BED200FF 80000000
	s_mov_b32 s19, 0x20000                                     // 0000000025F0: BE9300FF 00020000
	s_and_b32 s17, s17, 0xffff                                 // 0000000025F8: 8611FF11 0000FFFF
	s_and_b32 s81, s81, 0xffff                                 // 000000002600: 8651FF51 0000FFFF
	s_or_b32 s17, s17, 0x40000                                 // 000000002608: 8711FF11 00040000
	s_mov_b32 s48, 0x7060302                                   // 000000002610: BEB000FF 07060302
	v_mov_b32_e32 v9, 0xffff0000                               // 000000002618: 7E1202FF FFFF0000
	v_mov_b32_e32 v10, 0x7fff0000                              // 000000002620: 7E1402FF 7FFF0000
	v_mov_b32_e32 v11, 0x7fff                                  // 000000002628: 7E1602FF 00007FFF
	s_mul_i32 s50, 0x80, s44                                   // 000000002630: 92322CFF 00000080
	s_mul_hi_u32 s51, 4, s50                                   // 000000002638: 96333284
	s_add_u32 s29, s29, s51                                    // 00000000263C: 801D331D
	s_mul_i32 s51, 4, s50                                      // 000000002640: 92333284
	s_add_u32 s28, s28, s51                                    // 000000002644: 801C331C
	s_addc_u32 s29, s29, 0                                     // 000000002648: 821D801D
	s_sub_i32 s51, s33, s50                                    // 00000000264C: 81B33221
	s_cmp_lt_u32 s51, 0x80                                     // 000000002650: BF0AFF33 00000080
	s_cselect_b32 s50, s51, 0x80                               // 000000002658: 8532FF33 00000080
	s_mul_i32 s51, 4, s50                                      // 000000002660: 92333284
	s_mov_b32 s30, s51                                         // 000000002664: BE9E0033
	s_mov_b32 s31, 0x20000                                     // 000000002668: BE9F00FF 00020000
	v_lshrrev_b32_e32 v4, 4, v0                                // 000000002670: 20080084
	v_lshlrev_b32_e32 v4, 4, v4                                // 000000002674: 24080884
	s_mul_i32 s52, s47, 0x80                                   // 000000002678: 9234FF2F 00000080
	v_add_u32_e64 v4, v4, s52                                  // 000000002680: D1340004 00006904
	v_add_u32_e64 v5, v4, 64                                   // 000000002688: D1340005 00018104
	buffer_load_dwordx4 v[12:15], v4, s[28:31], 0 offen        // 000000002690: E05C1000 80070C04
	buffer_load_dwordx4 v[16:19], v5, s[28:31], 0 offen        // 000000002698: E05C1000 80071005
	s_mul_i32 s50, 0x50, s45                                   // 0000000026A0: 92322DFF 00000050
	s_mul_hi_u32 s52, 4, s50                                   // 0000000026A8: 96343284
	s_mul_i32 s51, 4, s50                                      // 0000000026AC: 92333284
	s_add_u32 s20, s20, s51                                    // 0000000026B0: 80143314
	s_addc_u32 s21, s21, s52                                   // 0000000026B4: 82153415
	s_sub_i32 s51, s32, s50                                    // 0000000026B8: 81B33220
	s_cmp_lt_u32 s51, 0x50                                     // 0000000026BC: BF0AFF33 00000050
	s_cselect_b32 s50, s51, 0x50                               // 0000000026C4: 8532FF33 00000050
	s_lshl_b32 s51, s50, 2                                     // 0000000026CC: 8E338232
	s_mov_b32 s22, s51                                         // 0000000026D0: BE960033
	s_mov_b32 s23, 0x20000                                     // 0000000026D4: BE9700FF 00020000
	s_lshr_b32 s50, s76, 7                                     // 0000000026DC: 8F32874C
	s_mul_i32 s50, s50, s75                                    // 0000000026E0: 92324B32
	s_mul_i32 s51, s50, s32                                    // 0000000026E4: 92332032
	s_mul_hi_u32 s52, s50, s32                                 // 0000000026E8: 96342032
	s_lshr_b32 s50, s51, 30                                    // 0000000026EC: 8F329E33
	s_lshl_b32 s51, s51, 2                                     // 0000000026F0: 8E338233
	s_lshl_b32 s52, s52, 2                                     // 0000000026F4: 8E348234
	s_add_u32 s52, s52, s50                                    // 0000000026F8: 80343234
	s_add_u32 s20, s20, s51                                    // 0000000026FC: 80143314
	s_addc_u32 s21, s21, s52                                   // 000000002700: 82153415
	v_and_b32_e64 v161, v0, 15                                 // 000000002704: D11300A1 00011F00
	v_lshlrev_b32_e32 v161, 2, v161                            // 00000000270C: 25434282
	s_mov_b32 s50, 64                                          // 000000002710: BEB200C0
	v_add_u32_e64 v162, v161, s50                              // 000000002714: D13400A2 000065A1
	s_mov_b32 s50, 0x80                                        // 00000000271C: BEB200FF 00000080
	v_add_u32_e64 v163, v161, s50                              // 000000002724: D13400A3 000065A1
	s_mov_b32 s50, 0xc0                                        // 00000000272C: BEB200FF 000000C0
	v_add_u32_e64 v164, v161, s50                              // 000000002734: D13400A4 000065A1
	s_mov_b32 s50, 0x100                                       // 00000000273C: BEB200FF 00000100
	v_add_u32_e64 v165, v161, s50                              // 000000002744: D13400A5 000065A1
	s_mul_i32 s51, s41, s44                                    // 00000000274C: 92332C29
	s_mul_hi_u32 s52, 4, s51                                   // 000000002750: 96343384
	s_add_u32 s25, s25, s52                                    // 000000002754: 80193419
	s_mul_i32 s52, 4, s51                                      // 000000002758: 92343384
	s_add_u32 s24, s24, s52                                    // 00000000275C: 80183418
	s_addc_u32 s25, s25, 0                                     // 000000002760: 82198019
	s_lshr_b32 s50, s76, 7                                     // 000000002764: 8F32874C
	s_mul_i32 s50, s50, s75                                    // 000000002768: 92324B32
	s_lshl_b32 s50, s50, 2                                     // 00000000276C: 8E328232
	s_add_u32 s24, s24, s50                                    // 000000002770: 80183218
	s_addc_u32 s25, s25, 0                                     // 000000002774: 82198019
	s_sub_u32 s26, s26, s50                                    // 000000002778: 809A321A
	v_mov_b32_e32 v171, 0                                      // 00000000277C: 7F560280
	v_lshrrev_b32_e32 v4, 5, v0                                // 000000002780: 20080085
	v_lshlrev_b32_e32 v4, 2, v4                                // 000000002784: 24080882
	v_mul_i32_i24_e32 v4, s35, v4                              // 000000002788: 0C080823
	v_and_b32_e32 v36, 31, v0                                  // 00000000278C: 2648009F
	v_lshlrev_b32_e32 v36, 2, v36                              // 000000002790: 24484882
	s_mul_i32 s50, 0x50, s45                                   // 000000002794: 92322DFF 00000050
	s_sub_i32 s51, s32, s50                                    // 00000000279C: 81B33220
	s_cmp_lt_u32 s51, 0x50                                     // 0000000027A0: BF0AFF33 00000050
	s_cselect_b32 s51, s51, 0x50                               // 0000000027A8: 8533FF33 00000050
	s_mul_i32 s52, s35, s50                                    // 0000000027B0: 92343223
	s_mul_hi_u32 s50, s35, s50                                 // 0000000027B4: 96323223
	s_add_u32 s4, s4, s52                                      // 0000000027B8: 80043404
	s_addc_u32 s5, s5, s50                                     // 0000000027BC: 82053205
	s_mul_i32 s50, s35, s51                                    // 0000000027C0: 92323323
	s_mov_b32 s6, s50                                          // 0000000027C4: BE860032
	s_mov_b32 s7, 0x20000                                      // 0000000027C8: BE8700FF 00020000
	s_mul_i32 s51, s76, s75                                    // 0000000027D0: 92334B4C
	s_add_u32 s4, s51, s4                                      // 0000000027D4: 80040433
	s_addc_u32 s5, 0, s5                                       // 0000000027D8: 82050580
	s_sub_u32 s6, s6, s51                                      // 0000000027DC: 80863306
	s_mul_i32 s50, s35, s47                                    // 0000000027E0: 92322F23
	v_add3_u32 v36, v4, v36, s50                               // 0000000027E4: D1FF0024 00CA4904
	s_lshl_b32 s50, s35, 3                                     // 0000000027EC: 8E328323
	v_add_u32_e32 v37, s50, v36                                // 0000000027F0: 684A4832
	v_add_u32_e32 v38, s50, v37                                // 0000000027F4: 684C4A32
	v_add_u32_e32 v39, s50, v38                                // 0000000027F8: 684E4C32
	v_add_u32_e32 v40, s50, v39                                // 0000000027FC: 68504E32
	v_add_u32_e32 v41, s50, v40                                // 000000002800: 68525032
	v_add_u32_e32 v42, s50, v41                                // 000000002804: 68545232
	;; [unrolled: 1-line block ×3, first 2 shown]
	v_add_u32_e32 v44, s50, v43                                // 00000000280C: 68585632
	v_add_u32_e32 v45, s50, v44                                // 000000002810: 685A5832
	s_mov_b32 s54, 0x80                                        // 000000002814: BEB600FF 00000080
	s_mul_i32 s56, s32, 4                                      // 00000000281C: 92388420
	s_mov_b32 s57, 4                                           // 000000002820: BEB90084
	s_mov_b32 s50, 0x50                                        // 000000002824: BEB200FF 00000050
	s_lshr_b32 s50, s50, 2                                     // 00000000282C: 8F328232
	s_mul_i32 s50, s50, 32                                     // 000000002830: 9232A032
	s_mov_b32 s51, 8                                           // 000000002834: BEB30088
	s_add_u32 s50, s50, s51                                    // 000000002838: 80323332
	v_lshrrev_b32_e32 v4, 4, v0                                // 00000000283C: 20080084
	v_and_b32_e32 v5, 15, v0                                   // 000000002840: 260A008F
	v_and_b32_e32 v6, 3, v5                                    // 000000002844: 260C0A83
	v_lshrrev_b32_e32 v7, 2, v5                                // 000000002848: 200E0A82
	v_lshlrev_b32_e32 v4, 2, v4                                // 00000000284C: 24080882
	v_mul_lo_u32 v6, v6, s50                                   // 000000002850: D2850006 00006506
	v_lshlrev_b32_e32 v7, 5, v7                                // 000000002858: 240E0E85
	v_add_u32_e32 v4, v4, v6                                   // 00000000285C: 68080D04
	v_add_u32_e32 v4, v4, v7                                   // 000000002860: 68080F04
	v_lshlrev_b32_e32 v46, 2, v4                               // 000000002864: 245C0882
	s_mul_i32 s50, 0xa20, s47                                  // 000000002868: 92322FFF 00000A20
	s_add_u32 s58, 0, s50                                      // 000000002870: 803A3280
	s_add_u32 s59, 0x2880, s58                                 // 000000002874: 803B3AFF 00002880
	s_add_u32 s60, 0x2880, s59                                 // 00000000287C: 803C3BFF 00002880
	s_mov_b32 s55, 0x800                                       // 000000002884: BEB700FF 00000800
	s_mul_i32 s49, 0x80, s44                                   // 00000000288C: 92312CFF 00000080
	s_sub_i32 s51, s33, s49                                    // 000000002894: 81B33121
	s_cmp_lt_u32 s51, 0x80                                     // 000000002898: BF0AFF33 00000080
	s_cselect_b32 s50, s51, 0x80                               // 0000000028A0: 8532FF33 00000080
	s_mul_i32 s51, s36, s49                                    // 0000000028A8: 92333124
	s_mul_hi_u32 s52, s36, s49                                 // 0000000028AC: 96343124
	s_add_u32 s8, s8, s51                                      // 0000000028B0: 80083308
	s_addc_u32 s9, s9, s52                                     // 0000000028B4: 82093409
	s_mul_i32 s51, s36, s50                                    // 0000000028B8: 92333224
	s_mov_b32 s10, s51                                         // 0000000028BC: BE8A0033
	s_mov_b32 s11, 0x20000                                     // 0000000028C0: BE8B00FF 00020000
	s_lshr_b32 s51, s76, 7                                     // 0000000028C8: 8F33874C
	s_mul_i32 s50, s55, s75                                    // 0000000028CC: 92324B37
	s_mul_i32 s50, s51, s50                                    // 0000000028D0: 92323233
	s_add_u32 s8, s50, s8                                      // 0000000028D4: 80080832
	s_addc_u32 s9, 0, s9                                       // 0000000028D8: 82090980
	s_sub_u32 s10, s10, s50                                    // 0000000028DC: 808A320A
	s_lshl_b32 s50, s47, 5                                     // 0000000028E0: 8E32852F
	s_mul_i32 s50, s36, s50                                    // 0000000028E4: 92323224
	v_lshlrev_b32_e32 v32, 4, v0                               // 0000000028E8: 24400084
	v_add_u32_e32 v32, s50, v32                                // 0000000028EC: 68404032
	s_mov_b32 s50, 0x400                                       // 0000000028F0: BEB200FF 00000400
	v_add_u32_e64 v33, v32, s50                                // 0000000028F8: D1340021 00006520
	s_mul_i32 s50, s36, 16                                     // 000000002900: 92329024
	v_add_u32_e64 v34, v32, s50                                // 000000002904: D1340022 00006520
	v_add_u32_e64 v35, v33, s50                                // 00000000290C: D1340023 00006521
	s_add_u32 m0, 0, s58                                       // 000000002914: 807C3A80
	buffer_load_dword v36, s[4:7], 0 offen lds                 // 000000002918: E0511000 80010024
	s_add_u32 m0, 0x100, s58                                   // 000000002920: 807C3AFF 00000100
	buffer_load_dword v37, s[4:7], 0 offen lds                 // 000000002928: E0511000 80010025
	s_add_u32 m0, 0x200, s58                                   // 000000002930: 807C3AFF 00000200
	;; [unrolled: 2-line block ×6, first 2 shown]
	buffer_load_dword v42, s[4:7], 0 offen lds                 // 000000002978: E0511000 8001002A
	s_add_u32 m0, 0x700, s58                                   // 000000002980: 807C3AFF 00000700
	buffer_load_dword v43, s[4:7], 0 offen lds                 // 000000002988: E0511000 8001002B
	s_add_u32 m0, 0x800, s58                                   // 000000002990: 807C3AFF 00000800
	buffer_load_dword v44, s[4:7], 0 offen lds                 // 000000002998: E0511000 8001002C
	s_add_u32 m0, 0x900, s58                                   // 0000000029A0: 807C3AFF 00000900
	buffer_load_dword v45, s[4:7], 0 offen lds                 // 0000000029A8: E0511000 8001002D
	s_mov_b32 s53, 0                                           // 0000000029B0: BEB50080
	s_add_u32 s50, 0x80, s53                                   // 0000000029B4: 803235FF 00000080
	s_cmp_lt_u32 s50, s34                                      // 0000000029BC: BF0A2232
	s_cselect_b32 s54, s54, 0                                  // 0000000029C0: 85368036
	s_add_u32 s4, s54, s4                                      // 0000000029C4: 80040436
	s_addc_u32 s5, 0, s5                                       // 0000000029C8: 82050580
	s_sub_u32 s6, s6, s54                                      // 0000000029CC: 80863606
	buffer_load_dword v128, v161, s[20:23], 0 offen            // 0000000029D0: E0501000 800580A1
	buffer_load_dword v129, v162, s[20:23], 0 offen            // 0000000029D8: E0501000 800581A2
	buffer_load_dword v130, v163, s[20:23], 0 offen            // 0000000029E0: E0501000 800582A3
	buffer_load_dword v131, v164, s[20:23], 0 offen            // 0000000029E8: E0501000 800583A4
	buffer_load_dword v132, v165, s[20:23], 0 offen            // 0000000029F0: E0501000 800584A5
	s_add_u32 s50, 0x80, s53                                   // 0000000029F8: 803235FF 00000080
	s_cmp_lt_u32 s50, s34                                      // 000000002A00: BF0A2232
	s_cselect_b32 s56, s56, 0                                  // 000000002A04: 85388038
	s_add_u32 s20, s56, s20                                    // 000000002A08: 80141438
	s_addc_u32 s21, 0, s21                                     // 000000002A0C: 82151580
	v_mov_b32_e32 v88, 0                                       // 000000002A10: 7EB00280
	v_mov_b32_e32 v89, 0                                       // 000000002A14: 7EB20280
	v_mov_b32_e32 v90, 0                                       // 000000002A18: 7EB40280
	v_mov_b32_e32 v91, 0                                       // 000000002A1C: 7EB60280
	v_mov_b32_e32 v92, 0                                       // 000000002A20: 7EB80280
	v_mov_b32_e32 v93, 0                                       // 000000002A24: 7EBA0280
	v_mov_b32_e32 v94, 0                                       // 000000002A28: 7EBC0280
	v_mov_b32_e32 v95, 0                                       // 000000002A2C: 7EBE0280
	buffer_load_dwordx4 a[0:3], v32, s[8:11], 0 offen          // 000000002A30: E05C1000 80820020
	buffer_load_dwordx4 a[4:7], v33, s[8:11], 0 offen          // 000000002A38: E05C1000 80820421
	buffer_load_dwordx4 a[8:11], v34, s[8:11], 0 offen         // 000000002A40: E05C1000 80820822
	buffer_load_dwordx4 a[12:15], v35, s[8:11], 0 offen        // 000000002A48: E05C1000 80820C23
	s_mov_b32 s53, 0                                           // 000000002A50: BEB50080
	s_add_u32 s50, 0x80, s53                                   // 000000002A54: 803235FF 00000080
	s_cmp_lt_u32 s50, s34                                      // 000000002A5C: BF0A2232
	s_cselect_b32 s55, s55, 0                                  // 000000002A60: 85378037
	s_add_u32 s8, s55, s8                                      // 000000002A64: 80080837
	s_addc_u32 s9, 0, s9                                       // 000000002A68: 82090980
	s_sub_u32 s10, s10, s55                                    // 000000002A6C: 808A370A
	buffer_load_dword v158, v171, s[24:27], 0 offen            // 000000002A70: E0501000 80069EAB
	s_add_u32 s50, 0x80, s53                                   // 000000002A78: 803235FF 00000080
	s_cmp_lt_u32 s50, s34                                      // 000000002A80: BF0A2232
	s_cselect_b32 s57, s57, 0                                  // 000000002A84: 85398039
	s_add_u32 s24, s57, s24                                    // 000000002A88: 80181839
	s_addc_u32 s25, 0, s25                                     // 000000002A8C: 82191980
	s_sub_u32 s26, s26, s57                                    // 000000002A90: 809A391A
	s_add_u32 m0, 0, s59                                       // 000000002A94: 807C3B80
	buffer_load_dword v36, s[4:7], 0 offen lds                 // 000000002A98: E0511000 80010024
	s_add_u32 m0, 0x100, s59                                   // 000000002AA0: 807C3BFF 00000100
	buffer_load_dword v37, s[4:7], 0 offen lds                 // 000000002AA8: E0511000 80010025
	s_add_u32 m0, 0x200, s59                                   // 000000002AB0: 807C3BFF 00000200
	buffer_load_dword v38, s[4:7], 0 offen lds                 // 000000002AB8: E0511000 80010026
	s_add_u32 m0, 0x300, s59                                   // 000000002AC0: 807C3BFF 00000300
	buffer_load_dword v39, s[4:7], 0 offen lds                 // 000000002AC8: E0511000 80010027
	s_add_u32 m0, 0x400, s59                                   // 000000002AD0: 807C3BFF 00000400
	buffer_load_dword v40, s[4:7], 0 offen lds                 // 000000002AD8: E0511000 80010028
	s_add_u32 m0, 0x500, s59                                   // 000000002AE0: 807C3BFF 00000500
	buffer_load_dword v41, s[4:7], 0 offen lds                 // 000000002AE8: E0511000 80010029
	s_add_u32 m0, 0x600, s59                                   // 000000002AF0: 807C3BFF 00000600
	buffer_load_dword v42, s[4:7], 0 offen lds                 // 000000002AF8: E0511000 8001002A
	s_add_u32 m0, 0x700, s59                                   // 000000002B00: 807C3BFF 00000700
	buffer_load_dword v43, s[4:7], 0 offen lds                 // 000000002B08: E0511000 8001002B
	s_add_u32 m0, 0x800, s59                                   // 000000002B10: 807C3BFF 00000800
	buffer_load_dword v44, s[4:7], 0 offen lds                 // 000000002B18: E0511000 8001002C
	s_add_u32 m0, 0x900, s59                                   // 000000002B20: 807C3BFF 00000900
	buffer_load_dword v45, s[4:7], 0 offen lds                 // 000000002B28: E0511000 8001002D
	s_mov_b32 s53, 0x80                                        // 000000002B30: BEB500FF 00000080
	s_add_u32 s50, 0x80, s53                                   // 000000002B38: 803235FF 00000080
	s_cmp_lt_u32 s50, s34                                      // 000000002B40: BF0A2232
	s_cselect_b32 s54, s54, 0                                  // 000000002B44: 85368036
	s_add_u32 s4, s54, s4                                      // 000000002B48: 80040436
	s_addc_u32 s5, 0, s5                                       // 000000002B4C: 82050580
	s_sub_u32 s6, s6, s54                                      // 000000002B50: 80863606
	buffer_load_dword v133, v161, s[20:23], 0 offen            // 000000002B54: E0501000 800585A1
	buffer_load_dword v134, v162, s[20:23], 0 offen            // 000000002B5C: E0501000 800586A2
	buffer_load_dword v135, v163, s[20:23], 0 offen            // 000000002B64: E0501000 800587A3
	buffer_load_dword v136, v164, s[20:23], 0 offen            // 000000002B6C: E0501000 800588A4
	buffer_load_dword v137, v165, s[20:23], 0 offen            // 000000002B74: E0501000 800589A5
	s_add_u32 s50, 0x80, s53                                   // 000000002B7C: 803235FF 00000080
	s_cmp_lt_u32 s50, s34                                      // 000000002B84: BF0A2232
	s_cselect_b32 s56, s56, 0                                  // 000000002B88: 85388038
	s_add_u32 s20, s56, s20                                    // 000000002B8C: 80141438
	s_addc_u32 s21, 0, s21                                     // 000000002B90: 82151580
	v_mov_b32_e32 v96, 0                                       // 000000002B94: 7EC00280
	v_mov_b32_e32 v97, 0                                       // 000000002B98: 7EC20280
	v_mov_b32_e32 v98, 0                                       // 000000002B9C: 7EC40280
	v_mov_b32_e32 v99, 0                                       // 000000002BA0: 7EC60280
	v_mov_b32_e32 v100, 0                                      // 000000002BA4: 7EC80280
	v_mov_b32_e32 v101, 0                                      // 000000002BA8: 7ECA0280
	v_mov_b32_e32 v102, 0                                      // 000000002BAC: 7ECC0280
	v_mov_b32_e32 v103, 0                                      // 000000002BB0: 7ECE0280
	buffer_load_dwordx4 a[16:19], v32, s[8:11], 0 offen        // 000000002BB4: E05C1000 80821020
	buffer_load_dwordx4 a[20:23], v33, s[8:11], 0 offen        // 000000002BBC: E05C1000 80821421
	buffer_load_dwordx4 a[24:27], v34, s[8:11], 0 offen        // 000000002BC4: E05C1000 80821822
	buffer_load_dwordx4 a[28:31], v35, s[8:11], 0 offen        // 000000002BCC: E05C1000 80821C23
	s_mov_b32 s53, 0x80                                        // 000000002BD4: BEB500FF 00000080
	s_add_u32 s50, 0x80, s53                                   // 000000002BDC: 803235FF 00000080
	s_cmp_lt_u32 s50, s34                                      // 000000002BE4: BF0A2232
	s_cselect_b32 s55, s55, 0                                  // 000000002BE8: 85378037
	s_add_u32 s8, s55, s8                                      // 000000002BEC: 80080837
	s_addc_u32 s9, 0, s9                                       // 000000002BF0: 82090980
	s_sub_u32 s10, s10, s55                                    // 000000002BF4: 808A370A
	buffer_load_dword v159, v171, s[24:27], 0 offen            // 000000002BF8: E0501000 80069FAB
	s_add_u32 s50, 0x80, s53                                   // 000000002C00: 803235FF 00000080
	s_cmp_lt_u32 s50, s34                                      // 000000002C08: BF0A2232
	s_cselect_b32 s57, s57, 0                                  // 000000002C0C: 85398039
	s_add_u32 s24, s57, s24                                    // 000000002C10: 80181839
	s_addc_u32 s25, 0, s25                                     // 000000002C14: 82191980
	s_sub_u32 s26, s26, s57                                    // 000000002C18: 809A391A
	s_add_u32 m0, 0, s60                                       // 000000002C1C: 807C3C80
	buffer_load_dword v36, s[4:7], 0 offen lds                 // 000000002C20: E0511000 80010024
	s_add_u32 m0, 0x100, s60                                   // 000000002C28: 807C3CFF 00000100
	buffer_load_dword v37, s[4:7], 0 offen lds                 // 000000002C30: E0511000 80010025
	s_add_u32 m0, 0x200, s60                                   // 000000002C38: 807C3CFF 00000200
	buffer_load_dword v38, s[4:7], 0 offen lds                 // 000000002C40: E0511000 80010026
	s_add_u32 m0, 0x300, s60                                   // 000000002C48: 807C3CFF 00000300
	buffer_load_dword v39, s[4:7], 0 offen lds                 // 000000002C50: E0511000 80010027
	s_add_u32 m0, 0x400, s60                                   // 000000002C58: 807C3CFF 00000400
	buffer_load_dword v40, s[4:7], 0 offen lds                 // 000000002C60: E0511000 80010028
	s_add_u32 m0, 0x500, s60                                   // 000000002C68: 807C3CFF 00000500
	buffer_load_dword v41, s[4:7], 0 offen lds                 // 000000002C70: E0511000 80010029
	s_add_u32 m0, 0x600, s60                                   // 000000002C78: 807C3CFF 00000600
	buffer_load_dword v42, s[4:7], 0 offen lds                 // 000000002C80: E0511000 8001002A
	s_add_u32 m0, 0x700, s60                                   // 000000002C88: 807C3CFF 00000700
	buffer_load_dword v43, s[4:7], 0 offen lds                 // 000000002C90: E0511000 8001002B
	s_add_u32 m0, 0x800, s60                                   // 000000002C98: 807C3CFF 00000800
	buffer_load_dword v44, s[4:7], 0 offen lds                 // 000000002CA0: E0511000 8001002C
	s_add_u32 m0, 0x900, s60                                   // 000000002CA8: 807C3CFF 00000900
	buffer_load_dword v45, s[4:7], 0 offen lds                 // 000000002CB0: E0511000 8001002D
	s_mov_b32 s53, 0x100                                       // 000000002CB8: BEB500FF 00000100
	s_add_u32 s50, 0x80, s53                                   // 000000002CC0: 803235FF 00000080
	s_cmp_lt_u32 s50, s34                                      // 000000002CC8: BF0A2232
	s_cselect_b32 s54, s54, 0                                  // 000000002CCC: 85368036
	s_add_u32 s4, s54, s4                                      // 000000002CD0: 80040436
	s_addc_u32 s5, 0, s5                                       // 000000002CD4: 82050580
	s_sub_u32 s6, s6, s54                                      // 000000002CD8: 80863606
	buffer_load_dword v138, v161, s[20:23], 0 offen            // 000000002CDC: E0501000 80058AA1
	buffer_load_dword v139, v162, s[20:23], 0 offen            // 000000002CE4: E0501000 80058BA2
	buffer_load_dword v140, v163, s[20:23], 0 offen            // 000000002CEC: E0501000 80058CA3
	buffer_load_dword v141, v164, s[20:23], 0 offen            // 000000002CF4: E0501000 80058DA4
	buffer_load_dword v142, v165, s[20:23], 0 offen            // 000000002CFC: E0501000 80058EA5
	s_add_u32 s50, 0x80, s53                                   // 000000002D04: 803235FF 00000080
	s_cmp_lt_u32 s50, s34                                      // 000000002D0C: BF0A2232
	s_cselect_b32 s56, s56, 0                                  // 000000002D10: 85388038
	s_add_u32 s20, s56, s20                                    // 000000002D14: 80141438
	s_addc_u32 s21, 0, s21                                     // 000000002D18: 82151580
	v_mov_b32_e32 v104, 0                                      // 000000002D1C: 7ED00280
	v_mov_b32_e32 v105, 0                                      // 000000002D20: 7ED20280
	v_mov_b32_e32 v106, 0                                      // 000000002D24: 7ED40280
	v_mov_b32_e32 v107, 0                                      // 000000002D28: 7ED60280
	v_mov_b32_e32 v108, 0                                      // 000000002D2C: 7ED80280
	v_mov_b32_e32 v109, 0                                      // 000000002D30: 7EDA0280
	v_mov_b32_e32 v110, 0                                      // 000000002D34: 7EDC0280
	v_mov_b32_e32 v111, 0                                      // 000000002D38: 7EDE0280
	v_mov_b32_e32 v112, 0                                      // 000000002D3C: 7EE00280
	v_mov_b32_e32 v113, 0                                      // 000000002D40: 7EE20280
	v_mov_b32_e32 v114, 0                                      // 000000002D44: 7EE40280
	v_mov_b32_e32 v115, 0                                      // 000000002D48: 7EE60280
	v_mov_b32_e32 v116, 0                                      // 000000002D4C: 7EE80280
	v_mov_b32_e32 v117, 0                                      // 000000002D50: 7EEA0280
	v_mov_b32_e32 v118, 0                                      // 000000002D54: 7EEC0280
	v_mov_b32_e32 v119, 0                                      // 000000002D58: 7EEE0280
	v_mov_b32_e32 v120, 0                                      // 000000002D5C: 7EF00280
	v_mov_b32_e32 v121, 0                                      // 000000002D60: 7EF20280
	v_mov_b32_e32 v122, 0                                      // 000000002D64: 7EF40280
	v_mov_b32_e32 v123, 0                                      // 000000002D68: 7EF60280
	v_mov_b32_e32 v124, 0                                      // 000000002D6C: 7EF80280
	v_mov_b32_e32 v125, 0                                      // 000000002D70: 7EFA0280
	v_mov_b32_e32 v126, 0                                      // 000000002D74: 7EFC0280
	v_mov_b32_e32 v127, 0                                      // 000000002D78: 7EFE0280
	s_mov_b32 s43, s34                                         // 000000002D7C: BEAB0022
	s_mov_b32 s42, 0                                           // 000000002D80: BEAA0080
	s_waitcnt vmcnt(40)                                        // 000000002D84: BF8C8F78
	s_barrier                                                  // 000000002D88: BF8A0000
	ds_read_b128 a[48:51], v46                                 // 000000002D8C: DBFE0000 3000002E
	ds_read_b128 a[52:55], v46 offset:64                       // 000000002D94: DBFE0040 3400002E
	ds_read_b128 a[56:59], v46 offset:512                      // 000000002D9C: DBFE0200 3800002E
	ds_read_b128 a[60:63], v46 offset:576                      // 000000002DA4: DBFE0240 3C00002E
	ds_read_b128 a[64:67], v46 offset:1024                     // 000000002DAC: DBFE0400 4000002E
	ds_read_b128 a[68:71], v46 offset:1088                     // 000000002DB4: DBFE0440 4400002E
	ds_read_b128 a[72:75], v46 offset:1536                     // 000000002DBC: DBFE0600 4800002E
	ds_read_b128 a[76:79], v46 offset:1600                     // 000000002DC4: DBFE0640 4C00002E
	ds_read_b128 a[80:83], v46 offset:2048                     // 000000002DCC: DBFE0800 5000002E
	ds_read_b128 a[84:87], v46 offset:2112                     // 000000002DD4: DBFE0840 5400002E
	s_mov_b32 s50, 0                                           // 000000002DDC: BEB20080
	s_mov_b32 s51, 1.0                                         // 000000002DE0: BEB300F2
	s_cmp_eq_u32 s50, s75                                      // 000000002DE4: BF064B32
	s_cselect_b32 s50, s51, 0                                  // 000000002DE8: 85328033
	v_mul_f32_e64 v12, v12, s50                                // 000000002DEC: D105000C 0000650C
	v_mul_f32_e64 v13, v13, s50                                // 000000002DF4: D105000D 0000650D
	v_mul_f32_e64 v14, v14, s50                                // 000000002DFC: D105000E 0000650E
	v_mul_f32_e64 v15, v15, s50                                // 000000002E04: D105000F 0000650F
	v_mul_f32_e64 v16, v16, s50                                // 000000002E0C: D1050010 00006510
	v_mul_f32_e64 v17, v17, s50                                // 000000002E14: D1050011 00006511
	v_mul_f32_e64 v18, v18, s50                                // 000000002E1C: D1050012 00006512
	v_mul_f32_e64 v19, v19, s50                                // 000000002E24: D1050013 00006513
	v_and_b32_e64 v20, v0, 15                                  // 000000002E2C: D1130014 00011F00
	v_mul_lo_u32 v20, v20, s37                                 // 000000002E34: D2850014 00004B14
	v_lshrrev_b32_e32 v4, 4, v0                                // 000000002E3C: 20080084
	v_mul_i32_i24_e32 v4, 8, v4                                // 000000002E40: 0C080888
	v_add_u32_e32 v20, v4, v20                                 // 000000002E44: 68282904
	s_mul_i32 s50, 32, s47                                     // 000000002E48: 92322FA0
	s_mul_i32 s50, 2, s50                                      // 000000002E4C: 92323282
	v_add_u32_e32 v20, s50, v20                                // 000000002E50: 68282832
	s_mul_i32 s50, 16, s37                                     // 000000002E54: 92322590
	v_add_u32_e32 v21, s50, v20                                // 000000002E58: 682A2832
	v_add_u32_e32 v22, s50, v21                                // 000000002E5C: 682C2A32
	v_add_u32_e32 v23, s50, v22                                // 000000002E60: 682E2C32
	v_add_u32_e32 v24, s50, v23                                // 000000002E64: 68302E32
	s_mul_i32 s50, s47, s37                                    // 000000002E68: 9232252F
	v_lshlrev_b32_e32 v5, 2, v0                                // 000000002E6C: 240A0082
	v_add_u32_e32 v25, s50, v5                                 // 000000002E70: 68320A32
	s_mul_i32 s50, s45, 0x50                                   // 000000002E74: 9232FF2D 00000050
	s_add_i32 s77, s50, s47                                    // 000000002E7C: 814D2F32
	s_cmp_lt_i32 s42, s43                                      // 000000002E80: BF042B2A
	s_cbranch_scc0 label_0889                                  // 000000002E84: BF8405A7

0000000000002e88 <label_02E2>:
	s_waitcnt vmcnt(19) lgkmcnt(0)                             // 000000002E88: BF8C4073
	s_barrier                                                  // 000000002E8C: BF8A0000
	v_mfma_f32_16x16x32_fp8_fp8 v[48:51], a[0:1], a[48:49], 0  // 000000002E90: D3F30030 1A026100
	s_add_u32 m0, 0, s58                                       // 000000002E98: 807C3A80
	buffer_load_dword v36, s[4:7], 0 offen lds                 // 000000002E9C: E0511000 80010024
	v_mfma_f32_16x16x32_fp8_fp8 v[48:51], a[2:3], a[50:51], v[48:51]// 000000002EA4: D3F30030 1CC26502
	ds_read_b128 a[88:91], v46 offset:10368                    // 000000002EAC: DBFE2880 5800002E
	v_mfma_f32_16x16x32_fp8_fp8 v[48:51], a[4:5], a[52:53], v[48:51]// 000000002EB4: D3F30030 1CC26904
	s_add_u32 m0, 0x100, s58                                   // 000000002EBC: 807C3AFF 00000100
	buffer_load_dword v37, s[4:7], 0 offen lds                 // 000000002EC4: E0511000 80010025
	v_mfma_f32_16x16x32_fp8_fp8 v[48:51], a[6:7], a[54:55], v[48:51]// 000000002ECC: D3F30030 1CC26D06
	ds_read_b128 a[92:95], v46 offset:10432                    // 000000002ED4: DBFE28C0 5C00002E
	v_mul_f32_e32 v4, v158, v128                               // 000000002EDC: 0A09019E
	v_mov_b32_e32 v5, v4                                       // 000000002EE0: 7E0A0304
	v_mfma_f32_16x16x32_fp8_fp8 v[52:55], a[8:9], a[48:49], 0  // 000000002EE4: D3F30034 1A026108
	buffer_load_dwordx4 a[32:35], v32, s[8:11], 0 offen        // 000000002EEC: E05C1000 80822020
	v_mfma_f32_16x16x32_fp8_fp8 v[52:55], a[10:11], a[50:51], v[52:55]// 000000002EF4: D3F30034 1CD2650A
	buffer_load_dword v128, v161, s[20:23], 0 offen            // 000000002EFC: E0501000 800580A1
	v_mfma_f32_16x16x32_fp8_fp8 v[52:55], a[12:13], a[52:53], v[52:55]// 000000002F04: D3F30034 1CD2690C
	buffer_load_dwordx4 a[36:39], v33, s[8:11], 0 offen        // 000000002F0C: E05C1000 80822421
	v_mfma_f32_16x16x32_fp8_fp8 v[52:55], a[14:15], a[54:55], v[52:55]// 000000002F14: D3F30034 1CD26D0E
	v_pk_fma_f32 v[88:89], v[4:5], v[48:49], v[88:89]          // 000000002F1C: D3B04058 1D626104
	v_pk_fma_f32 v[90:91], v[4:5], v[50:51], v[90:91]          // 000000002F24: D3B0405A 1D6A6504
	v_pk_fma_f32 v[92:93], v[4:5], v[52:53], v[92:93]          // 000000002F2C: D3B0405C 1D726904
	v_pk_fma_f32 v[94:95], v[4:5], v[54:55], v[94:95]          // 000000002F34: D3B0405E 1D7A6D04
	v_mfma_f32_16x16x32_fp8_fp8 v[56:59], a[0:1], a[56:57], 0  // 000000002F3C: D3F30038 1A027100
	s_add_u32 m0, 0x200, s58                                   // 000000002F44: 807C3AFF 00000200
	buffer_load_dword v38, s[4:7], 0 offen lds                 // 000000002F4C: E0511000 80010026
	v_mfma_f32_16x16x32_fp8_fp8 v[56:59], a[2:3], a[58:59], v[56:59]// 000000002F54: D3F30038 1CE27502
	ds_read_b128 a[96:99], v46 offset:10880                    // 000000002F5C: DBFE2A80 6000002E
	v_mfma_f32_16x16x32_fp8_fp8 v[56:59], a[4:5], a[60:61], v[56:59]// 000000002F64: D3F30038 1CE27904
	s_add_u32 m0, 0x300, s58                                   // 000000002F6C: 807C3AFF 00000300
	buffer_load_dword v39, s[4:7], 0 offen lds                 // 000000002F74: E0511000 80010027
	v_mfma_f32_16x16x32_fp8_fp8 v[56:59], a[6:7], a[62:63], v[56:59]// 000000002F7C: D3F30038 1CE27D06
	ds_read_b128 a[100:103], v46 offset:10944                  // 000000002F84: DBFE2AC0 6400002E
	v_mul_f32_e32 v4, v158, v129                               // 000000002F8C: 0A09039E
	v_mov_b32_e32 v5, v4                                       // 000000002F90: 7E0A0304
	v_mfma_f32_16x16x32_fp8_fp8 v[60:63], a[8:9], a[56:57], 0  // 000000002F94: D3F3003C 1A027108
	buffer_load_dwordx4 a[40:43], v34, s[8:11], 0 offen        // 000000002F9C: E05C1000 80822822
	v_mfma_f32_16x16x32_fp8_fp8 v[60:63], a[10:11], a[58:59], v[60:63]// 000000002FA4: D3F3003C 1CF2750A
	buffer_load_dword v129, v162, s[20:23], 0 offen            // 000000002FAC: E0501000 800581A2
	v_mfma_f32_16x16x32_fp8_fp8 v[60:63], a[12:13], a[60:61], v[60:63]// 000000002FB4: D3F3003C 1CF2790C
	buffer_load_dwordx4 a[44:47], v35, s[8:11], 0 offen        // 000000002FBC: E05C1000 80822C23
	v_mfma_f32_16x16x32_fp8_fp8 v[60:63], a[14:15], a[62:63], v[60:63]// 000000002FC4: D3F3003C 1CF27D0E
	v_pk_fma_f32 v[96:97], v[4:5], v[56:57], v[96:97]          // 000000002FCC: D3B04060 1D827104
	v_pk_fma_f32 v[98:99], v[4:5], v[58:59], v[98:99]          // 000000002FD4: D3B04062 1D8A7504
	v_pk_fma_f32 v[100:101], v[4:5], v[60:61], v[100:101]      // 000000002FDC: D3B04064 1D927904
	v_pk_fma_f32 v[102:103], v[4:5], v[62:63], v[102:103]      // 000000002FE4: D3B04066 1D9A7D04
	v_mfma_f32_16x16x32_fp8_fp8 v[64:67], a[0:1], a[64:65], 0  // 000000002FEC: D3F30040 1A028100
	s_add_u32 m0, 0x400, s58                                   // 000000002FF4: 807C3AFF 00000400
	buffer_load_dword v40, s[4:7], 0 offen lds                 // 000000002FFC: E0511000 80010028
	v_mfma_f32_16x16x32_fp8_fp8 v[64:67], a[2:3], a[66:67], v[64:67]// 000000003004: D3F30040 1D028502
	ds_read_b128 a[104:107], v46 offset:11392                  // 00000000300C: DBFE2C80 6800002E
	v_mfma_f32_16x16x32_fp8_fp8 v[64:67], a[4:5], a[68:69], v[64:67]// 000000003014: D3F30040 1D028904
	s_add_u32 m0, 0x500, s58                                   // 00000000301C: 807C3AFF 00000500
	buffer_load_dword v41, s[4:7], 0 offen lds                 // 000000003024: E0511000 80010029
	v_mfma_f32_16x16x32_fp8_fp8 v[64:67], a[6:7], a[70:71], v[64:67]// 00000000302C: D3F30040 1D028D06
	ds_read_b128 a[108:111], v46 offset:11456                  // 000000003034: DBFE2CC0 6C00002E
	v_mul_f32_e32 v4, v158, v130                               // 00000000303C: 0A09059E
	v_mov_b32_e32 v5, v4                                       // 000000003040: 7E0A0304
	v_mfma_f32_16x16x32_fp8_fp8 v[68:71], a[8:9], a[64:65], 0  // 000000003044: D3F30044 1A028108
	v_mfma_f32_16x16x32_fp8_fp8 v[68:71], a[10:11], a[66:67], v[68:71]// 00000000304C: D3F30044 1D12850A
	buffer_load_dword v130, v163, s[20:23], 0 offen            // 000000003054: E0501000 800582A3
	v_mfma_f32_16x16x32_fp8_fp8 v[68:71], a[12:13], a[68:69], v[68:71]// 00000000305C: D3F30044 1D12890C
	v_mfma_f32_16x16x32_fp8_fp8 v[68:71], a[14:15], a[70:71], v[68:71]// 000000003064: D3F30044 1D128D0E
	v_pk_fma_f32 v[104:105], v[4:5], v[64:65], v[104:105]      // 00000000306C: D3B04068 1DA28104
	v_pk_fma_f32 v[106:107], v[4:5], v[66:67], v[106:107]      // 000000003074: D3B0406A 1DAA8504
	v_pk_fma_f32 v[108:109], v[4:5], v[68:69], v[108:109]      // 00000000307C: D3B0406C 1DB28904
	v_pk_fma_f32 v[110:111], v[4:5], v[70:71], v[110:111]      // 000000003084: D3B0406E 1DBA8D04
	v_mfma_f32_16x16x32_fp8_fp8 v[72:75], a[0:1], a[72:73], 0  // 00000000308C: D3F30048 1A029100
	s_add_u32 m0, 0x600, s58                                   // 000000003094: 807C3AFF 00000600
	buffer_load_dword v42, s[4:7], 0 offen lds                 // 00000000309C: E0511000 8001002A
	v_mfma_f32_16x16x32_fp8_fp8 v[72:75], a[2:3], a[74:75], v[72:75]// 0000000030A4: D3F30048 1D229502
	ds_read_b128 a[112:115], v46 offset:11904                  // 0000000030AC: DBFE2E80 7000002E
	v_mfma_f32_16x16x32_fp8_fp8 v[72:75], a[4:5], a[76:77], v[72:75]// 0000000030B4: D3F30048 1D229904
	s_add_u32 m0, 0x700, s58                                   // 0000000030BC: 807C3AFF 00000700
	buffer_load_dword v43, s[4:7], 0 offen lds                 // 0000000030C4: E0511000 8001002B
	v_mfma_f32_16x16x32_fp8_fp8 v[72:75], a[6:7], a[78:79], v[72:75]// 0000000030CC: D3F30048 1D229D06
	ds_read_b128 a[116:119], v46 offset:11968                  // 0000000030D4: DBFE2EC0 7400002E
	v_mul_f32_e32 v4, v158, v131                               // 0000000030DC: 0A09079E
	v_mov_b32_e32 v5, v4                                       // 0000000030E0: 7E0A0304
	v_mfma_f32_16x16x32_fp8_fp8 v[76:79], a[8:9], a[72:73], 0  // 0000000030E4: D3F3004C 1A029108
	v_mfma_f32_16x16x32_fp8_fp8 v[76:79], a[10:11], a[74:75], v[76:79]// 0000000030EC: D3F3004C 1D32950A
	buffer_load_dword v131, v164, s[20:23], 0 offen            // 0000000030F4: E0501000 800583A4
	v_mfma_f32_16x16x32_fp8_fp8 v[76:79], a[12:13], a[76:77], v[76:79]// 0000000030FC: D3F3004C 1D32990C
	v_mfma_f32_16x16x32_fp8_fp8 v[76:79], a[14:15], a[78:79], v[76:79]// 000000003104: D3F3004C 1D329D0E
	v_pk_fma_f32 v[112:113], v[4:5], v[72:73], v[112:113]      // 00000000310C: D3B04070 1DC29104
	v_pk_fma_f32 v[114:115], v[4:5], v[74:75], v[114:115]      // 000000003114: D3B04072 1DCA9504
	v_pk_fma_f32 v[116:117], v[4:5], v[76:77], v[116:117]      // 00000000311C: D3B04074 1DD29904
	v_pk_fma_f32 v[118:119], v[4:5], v[78:79], v[118:119]      // 000000003124: D3B04076 1DDA9D04
	v_mfma_f32_16x16x32_fp8_fp8 v[80:83], a[0:1], a[80:81], 0  // 00000000312C: D3F30050 1A02A100
	s_add_u32 m0, 0x800, s58                                   // 000000003134: 807C3AFF 00000800
	buffer_load_dword v44, s[4:7], 0 offen lds                 // 00000000313C: E0511000 8001002C
	v_mfma_f32_16x16x32_fp8_fp8 v[80:83], a[2:3], a[82:83], v[80:83]// 000000003144: D3F30050 1D42A502
	ds_read_b128 a[120:123], v46 offset:12416                  // 00000000314C: DBFE3080 7800002E
	v_mfma_f32_16x16x32_fp8_fp8 v[80:83], a[4:5], a[84:85], v[80:83]// 000000003154: D3F30050 1D42A904
	s_add_u32 m0, 0x900, s58                                   // 00000000315C: 807C3AFF 00000900
	buffer_load_dword v45, s[4:7], 0 offen lds                 // 000000003164: E0511000 8001002D
	v_mfma_f32_16x16x32_fp8_fp8 v[80:83], a[6:7], a[86:87], v[80:83]// 00000000316C: D3F30050 1D42AD06
	ds_read_b128 a[124:127], v46 offset:12480                  // 000000003174: DBFE30C0 7C00002E
	v_mul_f32_e32 v4, v158, v132                               // 00000000317C: 0A09099E
	v_mov_b32_e32 v5, v4                                       // 000000003180: 7E0A0304
	v_mfma_f32_16x16x32_fp8_fp8 v[84:87], a[8:9], a[80:81], 0  // 000000003184: D3F30054 1A02A108
	v_mfma_f32_16x16x32_fp8_fp8 v[84:87], a[10:11], a[82:83], v[84:87]// 00000000318C: D3F30054 1D52A50A
	buffer_load_dword v132, v165, s[20:23], 0 offen            // 000000003194: E0501000 800584A5
	s_add_u32 s50, 0x200, s42                                  // 00000000319C: 80322AFF 00000200
	s_cmp_lt_u32 s50, s43                                      // 0000000031A4: BF0A2B32
	s_cselect_b32 s54, s54, 0                                  // 0000000031A8: 85368036
	s_add_u32 s50, 0x180, s42                                  // 0000000031AC: 80322AFF 00000180
	s_cmp_lt_u32 s50, s43                                      // 0000000031B4: BF0A2B32
	s_cselect_b32 s55, s55, 0                                  // 0000000031B8: 85378037
	s_add_u32 s50, 0x200, s42                                  // 0000000031BC: 80322AFF 00000200
	s_cmp_lt_u32 s50, s43                                      // 0000000031C4: BF0A2B32
	s_cselect_b32 s56, s56, 0                                  // 0000000031C8: 85388038
	s_add_u32 s50, 0x180, s42                                  // 0000000031CC: 80322AFF 00000180
	s_cmp_lt_u32 s50, s43                                      // 0000000031D4: BF0A2B32
	s_cselect_b32 s57, s57, 0                                  // 0000000031D8: 85398039
	v_mfma_f32_16x16x32_fp8_fp8 v[84:87], a[12:13], a[84:85], v[84:87]// 0000000031DC: D3F30054 1D52A90C
	v_mfma_f32_16x16x32_fp8_fp8 v[84:87], a[14:15], a[86:87], v[84:87]// 0000000031E4: D3F30054 1D52AD0E
	buffer_load_dword v160, v171, s[24:27], 0 offen            // 0000000031EC: E0501000 8006A0AB
	s_add_u32 s4, s54, s4                                      // 0000000031F4: 80040436
	s_addc_u32 s5, 0, s5                                       // 0000000031F8: 82050580
	s_sub_u32 s6, s6, s54                                      // 0000000031FC: 80863606
	s_add_u32 s8, s55, s8                                      // 000000003200: 80080837
	s_addc_u32 s9, 0, s9                                       // 000000003204: 82090980
	s_sub_u32 s10, s10, s55                                    // 000000003208: 808A370A
	s_add_u32 s20, s56, s20                                    // 00000000320C: 80141438
	s_addc_u32 s21, 0, s21                                     // 000000003210: 82151580
	s_add_u32 s24, s57, s24                                    // 000000003214: 80181839
	s_addc_u32 s25, 0, s25                                     // 000000003218: 82191980
	s_sub_u32 s26, s26, s57                                    // 00000000321C: 809A391A
	v_pk_fma_f32 v[120:121], v[4:5], v[80:81], v[120:121]      // 000000003220: D3B04078 1DE2A104
	v_pk_fma_f32 v[122:123], v[4:5], v[82:83], v[122:123]      // 000000003228: D3B0407A 1DEAA504
	v_pk_fma_f32 v[124:125], v[4:5], v[84:85], v[124:125]      // 000000003230: D3B0407C 1DF2A904
	v_pk_fma_f32 v[126:127], v[4:5], v[86:87], v[126:127]      // 000000003238: D3B0407E 1DFAAD04
	s_addk_i32 s42, 0x80                                       // 000000003240: B72A0080
	s_cmp_lt_i32 s42, s43                                      // 000000003244: BF042B2A
	s_cbranch_scc0 label_0889                                  // 000000003248: BF8404B6
	s_waitcnt vmcnt(19) lgkmcnt(0)                             // 00000000324C: BF8C4073
	s_barrier                                                  // 000000003250: BF8A0000
	v_mfma_f32_16x16x32_fp8_fp8 v[48:51], a[16:17], a[88:89], 0// 000000003254: D3F30030 1A02B110
	s_add_u32 m0, 0, s59                                       // 00000000325C: 807C3B80
	buffer_load_dword v36, s[4:7], 0 offen lds                 // 000000003260: E0511000 80010024
	v_mfma_f32_16x16x32_fp8_fp8 v[48:51], a[18:19], a[90:91], v[48:51]// 000000003268: D3F30030 1CC2B512
	ds_read_b128 a[48:51], v46 offset:20736                    // 000000003270: DBFE5100 3000002E
	v_mfma_f32_16x16x32_fp8_fp8 v[48:51], a[20:21], a[92:93], v[48:51]// 000000003278: D3F30030 1CC2B914
	s_add_u32 m0, 0x100, s59                                   // 000000003280: 807C3BFF 00000100
	buffer_load_dword v37, s[4:7], 0 offen lds                 // 000000003288: E0511000 80010025
	v_mfma_f32_16x16x32_fp8_fp8 v[48:51], a[22:23], a[94:95], v[48:51]// 000000003290: D3F30030 1CC2BD16
	ds_read_b128 a[52:55], v46 offset:20800                    // 000000003298: DBFE5140 3400002E
	v_mul_f32_e32 v4, v159, v133                               // 0000000032A0: 0A090B9F
	v_mov_b32_e32 v5, v4                                       // 0000000032A4: 7E0A0304
	v_mfma_f32_16x16x32_fp8_fp8 v[52:55], a[24:25], a[88:89], 0// 0000000032A8: D3F30034 1A02B118
	buffer_load_dwordx4 a[0:3], v32, s[8:11], 0 offen          // 0000000032B0: E05C1000 80820020
	v_mfma_f32_16x16x32_fp8_fp8 v[52:55], a[26:27], a[90:91], v[52:55]// 0000000032B8: D3F30034 1CD2B51A
	buffer_load_dword v133, v161, s[20:23], 0 offen            // 0000000032C0: E0501000 800585A1
	v_mfma_f32_16x16x32_fp8_fp8 v[52:55], a[28:29], a[92:93], v[52:55]// 0000000032C8: D3F30034 1CD2B91C
	buffer_load_dwordx4 a[4:7], v33, s[8:11], 0 offen          // 0000000032D0: E05C1000 80820421
	v_mfma_f32_16x16x32_fp8_fp8 v[52:55], a[30:31], a[94:95], v[52:55]// 0000000032D8: D3F30034 1CD2BD1E
	v_pk_fma_f32 v[88:89], v[4:5], v[48:49], v[88:89]          // 0000000032E0: D3B04058 1D626104
	v_pk_fma_f32 v[90:91], v[4:5], v[50:51], v[90:91]          // 0000000032E8: D3B0405A 1D6A6504
	v_pk_fma_f32 v[92:93], v[4:5], v[52:53], v[92:93]          // 0000000032F0: D3B0405C 1D726904
	v_pk_fma_f32 v[94:95], v[4:5], v[54:55], v[94:95]          // 0000000032F8: D3B0405E 1D7A6D04
	v_mfma_f32_16x16x32_fp8_fp8 v[56:59], a[16:17], a[96:97], 0// 000000003300: D3F30038 1A02C110
	s_add_u32 m0, 0x200, s59                                   // 000000003308: 807C3BFF 00000200
	buffer_load_dword v38, s[4:7], 0 offen lds                 // 000000003310: E0511000 80010026
	v_mfma_f32_16x16x32_fp8_fp8 v[56:59], a[18:19], a[98:99], v[56:59]// 000000003318: D3F30038 1CE2C512
	ds_read_b128 a[56:59], v46 offset:21248                    // 000000003320: DBFE5300 3800002E
	v_mfma_f32_16x16x32_fp8_fp8 v[56:59], a[20:21], a[100:101], v[56:59]// 000000003328: D3F30038 1CE2C914
	s_add_u32 m0, 0x300, s59                                   // 000000003330: 807C3BFF 00000300
	buffer_load_dword v39, s[4:7], 0 offen lds                 // 000000003338: E0511000 80010027
	v_mfma_f32_16x16x32_fp8_fp8 v[56:59], a[22:23], a[102:103], v[56:59]// 000000003340: D3F30038 1CE2CD16
	ds_read_b128 a[60:63], v46 offset:21312                    // 000000003348: DBFE5340 3C00002E
	v_mul_f32_e32 v4, v159, v134                               // 000000003350: 0A090D9F
	v_mov_b32_e32 v5, v4                                       // 000000003354: 7E0A0304
	v_mfma_f32_16x16x32_fp8_fp8 v[60:63], a[24:25], a[96:97], 0// 000000003358: D3F3003C 1A02C118
	buffer_load_dwordx4 a[8:11], v34, s[8:11], 0 offen         // 000000003360: E05C1000 80820822
	v_mfma_f32_16x16x32_fp8_fp8 v[60:63], a[26:27], a[98:99], v[60:63]// 000000003368: D3F3003C 1CF2C51A
	buffer_load_dword v134, v162, s[20:23], 0 offen            // 000000003370: E0501000 800586A2
	v_mfma_f32_16x16x32_fp8_fp8 v[60:63], a[28:29], a[100:101], v[60:63]// 000000003378: D3F3003C 1CF2C91C
	buffer_load_dwordx4 a[12:15], v35, s[8:11], 0 offen        // 000000003380: E05C1000 80820C23
	v_mfma_f32_16x16x32_fp8_fp8 v[60:63], a[30:31], a[102:103], v[60:63]// 000000003388: D3F3003C 1CF2CD1E
	v_pk_fma_f32 v[96:97], v[4:5], v[56:57], v[96:97]          // 000000003390: D3B04060 1D827104
	v_pk_fma_f32 v[98:99], v[4:5], v[58:59], v[98:99]          // 000000003398: D3B04062 1D8A7504
	v_pk_fma_f32 v[100:101], v[4:5], v[60:61], v[100:101]      // 0000000033A0: D3B04064 1D927904
	v_pk_fma_f32 v[102:103], v[4:5], v[62:63], v[102:103]      // 0000000033A8: D3B04066 1D9A7D04
	v_mfma_f32_16x16x32_fp8_fp8 v[64:67], a[16:17], a[104:105], 0// 0000000033B0: D3F30040 1A02D110
	s_add_u32 m0, 0x400, s59                                   // 0000000033B8: 807C3BFF 00000400
	buffer_load_dword v40, s[4:7], 0 offen lds                 // 0000000033C0: E0511000 80010028
	v_mfma_f32_16x16x32_fp8_fp8 v[64:67], a[18:19], a[106:107], v[64:67]// 0000000033C8: D3F30040 1D02D512
	ds_read_b128 a[64:67], v46 offset:21760                    // 0000000033D0: DBFE5500 4000002E
	v_mfma_f32_16x16x32_fp8_fp8 v[64:67], a[20:21], a[108:109], v[64:67]// 0000000033D8: D3F30040 1D02D914
	s_add_u32 m0, 0x500, s59                                   // 0000000033E0: 807C3BFF 00000500
	buffer_load_dword v41, s[4:7], 0 offen lds                 // 0000000033E8: E0511000 80010029
	v_mfma_f32_16x16x32_fp8_fp8 v[64:67], a[22:23], a[110:111], v[64:67]// 0000000033F0: D3F30040 1D02DD16
	ds_read_b128 a[68:71], v46 offset:21824                    // 0000000033F8: DBFE5540 4400002E
	v_mul_f32_e32 v4, v159, v135                               // 000000003400: 0A090F9F
	v_mov_b32_e32 v5, v4                                       // 000000003404: 7E0A0304
	v_mfma_f32_16x16x32_fp8_fp8 v[68:71], a[24:25], a[104:105], 0// 000000003408: D3F30044 1A02D118
	v_mfma_f32_16x16x32_fp8_fp8 v[68:71], a[26:27], a[106:107], v[68:71]// 000000003410: D3F30044 1D12D51A
	buffer_load_dword v135, v163, s[20:23], 0 offen            // 000000003418: E0501000 800587A3
	v_mfma_f32_16x16x32_fp8_fp8 v[68:71], a[28:29], a[108:109], v[68:71]// 000000003420: D3F30044 1D12D91C
	v_mfma_f32_16x16x32_fp8_fp8 v[68:71], a[30:31], a[110:111], v[68:71]// 000000003428: D3F30044 1D12DD1E
	v_pk_fma_f32 v[104:105], v[4:5], v[64:65], v[104:105]      // 000000003430: D3B04068 1DA28104
	v_pk_fma_f32 v[106:107], v[4:5], v[66:67], v[106:107]      // 000000003438: D3B0406A 1DAA8504
	v_pk_fma_f32 v[108:109], v[4:5], v[68:69], v[108:109]      // 000000003440: D3B0406C 1DB28904
	v_pk_fma_f32 v[110:111], v[4:5], v[70:71], v[110:111]      // 000000003448: D3B0406E 1DBA8D04
	v_mfma_f32_16x16x32_fp8_fp8 v[72:75], a[16:17], a[112:113], 0// 000000003450: D3F30048 1A02E110
	s_add_u32 m0, 0x600, s59                                   // 000000003458: 807C3BFF 00000600
	buffer_load_dword v42, s[4:7], 0 offen lds                 // 000000003460: E0511000 8001002A
	v_mfma_f32_16x16x32_fp8_fp8 v[72:75], a[18:19], a[114:115], v[72:75]// 000000003468: D3F30048 1D22E512
	ds_read_b128 a[72:75], v46 offset:22272                    // 000000003470: DBFE5700 4800002E
	v_mfma_f32_16x16x32_fp8_fp8 v[72:75], a[20:21], a[116:117], v[72:75]// 000000003478: D3F30048 1D22E914
	s_add_u32 m0, 0x700, s59                                   // 000000003480: 807C3BFF 00000700
	buffer_load_dword v43, s[4:7], 0 offen lds                 // 000000003488: E0511000 8001002B
	v_mfma_f32_16x16x32_fp8_fp8 v[72:75], a[22:23], a[118:119], v[72:75]// 000000003490: D3F30048 1D22ED16
	ds_read_b128 a[76:79], v46 offset:22336                    // 000000003498: DBFE5740 4C00002E
	v_mul_f32_e32 v4, v159, v136                               // 0000000034A0: 0A09119F
	v_mov_b32_e32 v5, v4                                       // 0000000034A4: 7E0A0304
	v_mfma_f32_16x16x32_fp8_fp8 v[76:79], a[24:25], a[112:113], 0// 0000000034A8: D3F3004C 1A02E118
	v_mfma_f32_16x16x32_fp8_fp8 v[76:79], a[26:27], a[114:115], v[76:79]// 0000000034B0: D3F3004C 1D32E51A
	buffer_load_dword v136, v164, s[20:23], 0 offen            // 0000000034B8: E0501000 800588A4
	v_mfma_f32_16x16x32_fp8_fp8 v[76:79], a[28:29], a[116:117], v[76:79]// 0000000034C0: D3F3004C 1D32E91C
	v_mfma_f32_16x16x32_fp8_fp8 v[76:79], a[30:31], a[118:119], v[76:79]// 0000000034C8: D3F3004C 1D32ED1E
	v_pk_fma_f32 v[112:113], v[4:5], v[72:73], v[112:113]      // 0000000034D0: D3B04070 1DC29104
	v_pk_fma_f32 v[114:115], v[4:5], v[74:75], v[114:115]      // 0000000034D8: D3B04072 1DCA9504
	v_pk_fma_f32 v[116:117], v[4:5], v[76:77], v[116:117]      // 0000000034E0: D3B04074 1DD29904
	v_pk_fma_f32 v[118:119], v[4:5], v[78:79], v[118:119]      // 0000000034E8: D3B04076 1DDA9D04
	v_mfma_f32_16x16x32_fp8_fp8 v[80:83], a[16:17], a[120:121], 0// 0000000034F0: D3F30050 1A02F110
	s_add_u32 m0, 0x800, s59                                   // 0000000034F8: 807C3BFF 00000800
	buffer_load_dword v44, s[4:7], 0 offen lds                 // 000000003500: E0511000 8001002C
	v_mfma_f32_16x16x32_fp8_fp8 v[80:83], a[18:19], a[122:123], v[80:83]// 000000003508: D3F30050 1D42F512
	ds_read_b128 a[80:83], v46 offset:22784                    // 000000003510: DBFE5900 5000002E
	v_mfma_f32_16x16x32_fp8_fp8 v[80:83], a[20:21], a[124:125], v[80:83]// 000000003518: D3F30050 1D42F914
	s_add_u32 m0, 0x900, s59                                   // 000000003520: 807C3BFF 00000900
	buffer_load_dword v45, s[4:7], 0 offen lds                 // 000000003528: E0511000 8001002D
	v_mfma_f32_16x16x32_fp8_fp8 v[80:83], a[22:23], a[126:127], v[80:83]// 000000003530: D3F30050 1D42FD16
	ds_read_b128 a[84:87], v46 offset:22848                    // 000000003538: DBFE5940 5400002E
	v_mul_f32_e32 v4, v159, v137                               // 000000003540: 0A09139F
	v_mov_b32_e32 v5, v4                                       // 000000003544: 7E0A0304
	v_mfma_f32_16x16x32_fp8_fp8 v[84:87], a[24:25], a[120:121], 0// 000000003548: D3F30054 1A02F118
	v_mfma_f32_16x16x32_fp8_fp8 v[84:87], a[26:27], a[122:123], v[84:87]// 000000003550: D3F30054 1D52F51A
	buffer_load_dword v137, v165, s[20:23], 0 offen            // 000000003558: E0501000 800589A5
	s_add_u32 s50, 0x200, s42                                  // 000000003560: 80322AFF 00000200
	s_cmp_lt_u32 s50, s43                                      // 000000003568: BF0A2B32
	s_cselect_b32 s54, s54, 0                                  // 00000000356C: 85368036
	s_add_u32 s50, 0x180, s42                                  // 000000003570: 80322AFF 00000180
	s_cmp_lt_u32 s50, s43                                      // 000000003578: BF0A2B32
	s_cselect_b32 s55, s55, 0                                  // 00000000357C: 85378037
	s_add_u32 s50, 0x200, s42                                  // 000000003580: 80322AFF 00000200
	s_cmp_lt_u32 s50, s43                                      // 000000003588: BF0A2B32
	s_cselect_b32 s56, s56, 0                                  // 00000000358C: 85388038
	s_add_u32 s50, 0x180, s42                                  // 000000003590: 80322AFF 00000180
	s_cmp_lt_u32 s50, s43                                      // 000000003598: BF0A2B32
	s_cselect_b32 s57, s57, 0                                  // 00000000359C: 85398039
	v_mfma_f32_16x16x32_fp8_fp8 v[84:87], a[28:29], a[124:125], v[84:87]// 0000000035A0: D3F30054 1D52F91C
	v_mfma_f32_16x16x32_fp8_fp8 v[84:87], a[30:31], a[126:127], v[84:87]// 0000000035A8: D3F30054 1D52FD1E
	buffer_load_dword v158, v171, s[24:27], 0 offen            // 0000000035B0: E0501000 80069EAB
	s_add_u32 s4, s54, s4                                      // 0000000035B8: 80040436
	s_addc_u32 s5, 0, s5                                       // 0000000035BC: 82050580
	s_sub_u32 s6, s6, s54                                      // 0000000035C0: 80863606
	s_add_u32 s8, s55, s8                                      // 0000000035C4: 80080837
	s_addc_u32 s9, 0, s9                                       // 0000000035C8: 82090980
	s_sub_u32 s10, s10, s55                                    // 0000000035CC: 808A370A
	s_add_u32 s20, s56, s20                                    // 0000000035D0: 80141438
	s_addc_u32 s21, 0, s21                                     // 0000000035D4: 82151580
	s_add_u32 s24, s57, s24                                    // 0000000035D8: 80181839
	s_addc_u32 s25, 0, s25                                     // 0000000035DC: 82191980
	s_sub_u32 s26, s26, s57                                    // 0000000035E0: 809A391A
	v_pk_fma_f32 v[120:121], v[4:5], v[80:81], v[120:121]      // 0000000035E4: D3B04078 1DE2A104
	v_pk_fma_f32 v[122:123], v[4:5], v[82:83], v[122:123]      // 0000000035EC: D3B0407A 1DEAA504
	v_pk_fma_f32 v[124:125], v[4:5], v[84:85], v[124:125]      // 0000000035F4: D3B0407C 1DF2A904
	v_pk_fma_f32 v[126:127], v[4:5], v[86:87], v[126:127]      // 0000000035FC: D3B0407E 1DFAAD04
	s_addk_i32 s42, 0x80                                       // 000000003604: B72A0080
	s_cmp_lt_i32 s42, s43                                      // 000000003608: BF042B2A
	s_cbranch_scc0 label_0889                                  // 00000000360C: BF8403C5
	s_waitcnt vmcnt(19) lgkmcnt(0)                             // 000000003610: BF8C4073
	s_barrier                                                  // 000000003614: BF8A0000
	v_mfma_f32_16x16x32_fp8_fp8 v[48:51], a[32:33], a[48:49], 0// 000000003618: D3F30030 1A026120
	s_add_u32 m0, 0, s60                                       // 000000003620: 807C3C80
	buffer_load_dword v36, s[4:7], 0 offen lds                 // 000000003624: E0511000 80010024
	v_mfma_f32_16x16x32_fp8_fp8 v[48:51], a[34:35], a[50:51], v[48:51]// 00000000362C: D3F30030 1CC26522
	ds_read_b128 a[88:91], v46                                 // 000000003634: DBFE0000 5800002E
	v_mfma_f32_16x16x32_fp8_fp8 v[48:51], a[36:37], a[52:53], v[48:51]// 00000000363C: D3F30030 1CC26924
	s_add_u32 m0, 0x100, s60                                   // 000000003644: 807C3CFF 00000100
	buffer_load_dword v37, s[4:7], 0 offen lds                 // 00000000364C: E0511000 80010025
	v_mfma_f32_16x16x32_fp8_fp8 v[48:51], a[38:39], a[54:55], v[48:51]// 000000003654: D3F30030 1CC26D26
	ds_read_b128 a[92:95], v46 offset:64                       // 00000000365C: DBFE0040 5C00002E
	v_mul_f32_e32 v4, v160, v138                               // 000000003664: 0A0915A0
	v_mov_b32_e32 v5, v4                                       // 000000003668: 7E0A0304
	v_mfma_f32_16x16x32_fp8_fp8 v[52:55], a[40:41], a[48:49], 0// 00000000366C: D3F30034 1A026128
	buffer_load_dwordx4 a[16:19], v32, s[8:11], 0 offen        // 000000003674: E05C1000 80821020
	v_mfma_f32_16x16x32_fp8_fp8 v[52:55], a[42:43], a[50:51], v[52:55]// 00000000367C: D3F30034 1CD2652A
	buffer_load_dword v138, v161, s[20:23], 0 offen            // 000000003684: E0501000 80058AA1
	v_mfma_f32_16x16x32_fp8_fp8 v[52:55], a[44:45], a[52:53], v[52:55]// 00000000368C: D3F30034 1CD2692C
	buffer_load_dwordx4 a[20:23], v33, s[8:11], 0 offen        // 000000003694: E05C1000 80821421
	v_mfma_f32_16x16x32_fp8_fp8 v[52:55], a[46:47], a[54:55], v[52:55]// 00000000369C: D3F30034 1CD26D2E
	v_pk_fma_f32 v[88:89], v[4:5], v[48:49], v[88:89]          // 0000000036A4: D3B04058 1D626104
	v_pk_fma_f32 v[90:91], v[4:5], v[50:51], v[90:91]          // 0000000036AC: D3B0405A 1D6A6504
	v_pk_fma_f32 v[92:93], v[4:5], v[52:53], v[92:93]          // 0000000036B4: D3B0405C 1D726904
	v_pk_fma_f32 v[94:95], v[4:5], v[54:55], v[94:95]          // 0000000036BC: D3B0405E 1D7A6D04
	v_mfma_f32_16x16x32_fp8_fp8 v[56:59], a[32:33], a[56:57], 0// 0000000036C4: D3F30038 1A027120
	s_add_u32 m0, 0x200, s60                                   // 0000000036CC: 807C3CFF 00000200
	buffer_load_dword v38, s[4:7], 0 offen lds                 // 0000000036D4: E0511000 80010026
	v_mfma_f32_16x16x32_fp8_fp8 v[56:59], a[34:35], a[58:59], v[56:59]// 0000000036DC: D3F30038 1CE27522
	ds_read_b128 a[96:99], v46 offset:512                      // 0000000036E4: DBFE0200 6000002E
	v_mfma_f32_16x16x32_fp8_fp8 v[56:59], a[36:37], a[60:61], v[56:59]// 0000000036EC: D3F30038 1CE27924
	s_add_u32 m0, 0x300, s60                                   // 0000000036F4: 807C3CFF 00000300
	buffer_load_dword v39, s[4:7], 0 offen lds                 // 0000000036FC: E0511000 80010027
	v_mfma_f32_16x16x32_fp8_fp8 v[56:59], a[38:39], a[62:63], v[56:59]// 000000003704: D3F30038 1CE27D26
	ds_read_b128 a[100:103], v46 offset:576                    // 00000000370C: DBFE0240 6400002E
	v_mul_f32_e32 v4, v160, v139                               // 000000003714: 0A0917A0
	v_mov_b32_e32 v5, v4                                       // 000000003718: 7E0A0304
	v_mfma_f32_16x16x32_fp8_fp8 v[60:63], a[40:41], a[56:57], 0// 00000000371C: D3F3003C 1A027128
	buffer_load_dwordx4 a[24:27], v34, s[8:11], 0 offen        // 000000003724: E05C1000 80821822
	v_mfma_f32_16x16x32_fp8_fp8 v[60:63], a[42:43], a[58:59], v[60:63]// 00000000372C: D3F3003C 1CF2752A
	buffer_load_dword v139, v162, s[20:23], 0 offen            // 000000003734: E0501000 80058BA2
	v_mfma_f32_16x16x32_fp8_fp8 v[60:63], a[44:45], a[60:61], v[60:63]// 00000000373C: D3F3003C 1CF2792C
	buffer_load_dwordx4 a[28:31], v35, s[8:11], 0 offen        // 000000003744: E05C1000 80821C23
	v_mfma_f32_16x16x32_fp8_fp8 v[60:63], a[46:47], a[62:63], v[60:63]// 00000000374C: D3F3003C 1CF27D2E
	v_pk_fma_f32 v[96:97], v[4:5], v[56:57], v[96:97]          // 000000003754: D3B04060 1D827104
	v_pk_fma_f32 v[98:99], v[4:5], v[58:59], v[98:99]          // 00000000375C: D3B04062 1D8A7504
	v_pk_fma_f32 v[100:101], v[4:5], v[60:61], v[100:101]      // 000000003764: D3B04064 1D927904
	v_pk_fma_f32 v[102:103], v[4:5], v[62:63], v[102:103]      // 00000000376C: D3B04066 1D9A7D04
	v_mfma_f32_16x16x32_fp8_fp8 v[64:67], a[32:33], a[64:65], 0// 000000003774: D3F30040 1A028120
	s_add_u32 m0, 0x400, s60                                   // 00000000377C: 807C3CFF 00000400
	buffer_load_dword v40, s[4:7], 0 offen lds                 // 000000003784: E0511000 80010028
	v_mfma_f32_16x16x32_fp8_fp8 v[64:67], a[34:35], a[66:67], v[64:67]// 00000000378C: D3F30040 1D028522
	ds_read_b128 a[104:107], v46 offset:1024                   // 000000003794: DBFE0400 6800002E
	v_mfma_f32_16x16x32_fp8_fp8 v[64:67], a[36:37], a[68:69], v[64:67]// 00000000379C: D3F30040 1D028924
	s_add_u32 m0, 0x500, s60                                   // 0000000037A4: 807C3CFF 00000500
	buffer_load_dword v41, s[4:7], 0 offen lds                 // 0000000037AC: E0511000 80010029
	v_mfma_f32_16x16x32_fp8_fp8 v[64:67], a[38:39], a[70:71], v[64:67]// 0000000037B4: D3F30040 1D028D26
	ds_read_b128 a[108:111], v46 offset:1088                   // 0000000037BC: DBFE0440 6C00002E
	v_mul_f32_e32 v4, v160, v140                               // 0000000037C4: 0A0919A0
	v_mov_b32_e32 v5, v4                                       // 0000000037C8: 7E0A0304
	v_mfma_f32_16x16x32_fp8_fp8 v[68:71], a[40:41], a[64:65], 0// 0000000037CC: D3F30044 1A028128
	v_mfma_f32_16x16x32_fp8_fp8 v[68:71], a[42:43], a[66:67], v[68:71]// 0000000037D4: D3F30044 1D12852A
	buffer_load_dword v140, v163, s[20:23], 0 offen            // 0000000037DC: E0501000 80058CA3
	v_mfma_f32_16x16x32_fp8_fp8 v[68:71], a[44:45], a[68:69], v[68:71]// 0000000037E4: D3F30044 1D12892C
	v_mfma_f32_16x16x32_fp8_fp8 v[68:71], a[46:47], a[70:71], v[68:71]// 0000000037EC: D3F30044 1D128D2E
	v_pk_fma_f32 v[104:105], v[4:5], v[64:65], v[104:105]      // 0000000037F4: D3B04068 1DA28104
	v_pk_fma_f32 v[106:107], v[4:5], v[66:67], v[106:107]      // 0000000037FC: D3B0406A 1DAA8504
	v_pk_fma_f32 v[108:109], v[4:5], v[68:69], v[108:109]      // 000000003804: D3B0406C 1DB28904
	v_pk_fma_f32 v[110:111], v[4:5], v[70:71], v[110:111]      // 00000000380C: D3B0406E 1DBA8D04
	v_mfma_f32_16x16x32_fp8_fp8 v[72:75], a[32:33], a[72:73], 0// 000000003814: D3F30048 1A029120
	s_add_u32 m0, 0x600, s60                                   // 00000000381C: 807C3CFF 00000600
	buffer_load_dword v42, s[4:7], 0 offen lds                 // 000000003824: E0511000 8001002A
	v_mfma_f32_16x16x32_fp8_fp8 v[72:75], a[34:35], a[74:75], v[72:75]// 00000000382C: D3F30048 1D229522
	ds_read_b128 a[112:115], v46 offset:1536                   // 000000003834: DBFE0600 7000002E
	v_mfma_f32_16x16x32_fp8_fp8 v[72:75], a[36:37], a[76:77], v[72:75]// 00000000383C: D3F30048 1D229924
	s_add_u32 m0, 0x700, s60                                   // 000000003844: 807C3CFF 00000700
	buffer_load_dword v43, s[4:7], 0 offen lds                 // 00000000384C: E0511000 8001002B
	v_mfma_f32_16x16x32_fp8_fp8 v[72:75], a[38:39], a[78:79], v[72:75]// 000000003854: D3F30048 1D229D26
	ds_read_b128 a[116:119], v46 offset:1600                   // 00000000385C: DBFE0640 7400002E
	v_mul_f32_e32 v4, v160, v141                               // 000000003864: 0A091BA0
	v_mov_b32_e32 v5, v4                                       // 000000003868: 7E0A0304
	v_mfma_f32_16x16x32_fp8_fp8 v[76:79], a[40:41], a[72:73], 0// 00000000386C: D3F3004C 1A029128
	v_mfma_f32_16x16x32_fp8_fp8 v[76:79], a[42:43], a[74:75], v[76:79]// 000000003874: D3F3004C 1D32952A
	buffer_load_dword v141, v164, s[20:23], 0 offen            // 00000000387C: E0501000 80058DA4
	v_mfma_f32_16x16x32_fp8_fp8 v[76:79], a[44:45], a[76:77], v[76:79]// 000000003884: D3F3004C 1D32992C
	v_mfma_f32_16x16x32_fp8_fp8 v[76:79], a[46:47], a[78:79], v[76:79]// 00000000388C: D3F3004C 1D329D2E
	v_pk_fma_f32 v[112:113], v[4:5], v[72:73], v[112:113]      // 000000003894: D3B04070 1DC29104
	v_pk_fma_f32 v[114:115], v[4:5], v[74:75], v[114:115]      // 00000000389C: D3B04072 1DCA9504
	v_pk_fma_f32 v[116:117], v[4:5], v[76:77], v[116:117]      // 0000000038A4: D3B04074 1DD29904
	v_pk_fma_f32 v[118:119], v[4:5], v[78:79], v[118:119]      // 0000000038AC: D3B04076 1DDA9D04
	v_mfma_f32_16x16x32_fp8_fp8 v[80:83], a[32:33], a[80:81], 0// 0000000038B4: D3F30050 1A02A120
	s_add_u32 m0, 0x800, s60                                   // 0000000038BC: 807C3CFF 00000800
	buffer_load_dword v44, s[4:7], 0 offen lds                 // 0000000038C4: E0511000 8001002C
	v_mfma_f32_16x16x32_fp8_fp8 v[80:83], a[34:35], a[82:83], v[80:83]// 0000000038CC: D3F30050 1D42A522
	ds_read_b128 a[120:123], v46 offset:2048                   // 0000000038D4: DBFE0800 7800002E
	v_mfma_f32_16x16x32_fp8_fp8 v[80:83], a[36:37], a[84:85], v[80:83]// 0000000038DC: D3F30050 1D42A924
	s_add_u32 m0, 0x900, s60                                   // 0000000038E4: 807C3CFF 00000900
	buffer_load_dword v45, s[4:7], 0 offen lds                 // 0000000038EC: E0511000 8001002D
	v_mfma_f32_16x16x32_fp8_fp8 v[80:83], a[38:39], a[86:87], v[80:83]// 0000000038F4: D3F30050 1D42AD26
	ds_read_b128 a[124:127], v46 offset:2112                   // 0000000038FC: DBFE0840 7C00002E
	v_mul_f32_e32 v4, v160, v142                               // 000000003904: 0A091DA0
	v_mov_b32_e32 v5, v4                                       // 000000003908: 7E0A0304
	v_mfma_f32_16x16x32_fp8_fp8 v[84:87], a[40:41], a[80:81], 0// 00000000390C: D3F30054 1A02A128
	v_mfma_f32_16x16x32_fp8_fp8 v[84:87], a[42:43], a[82:83], v[84:87]// 000000003914: D3F30054 1D52A52A
	buffer_load_dword v142, v165, s[20:23], 0 offen            // 00000000391C: E0501000 80058EA5
	s_add_u32 s50, 0x200, s42                                  // 000000003924: 80322AFF 00000200
	s_cmp_lt_u32 s50, s43                                      // 00000000392C: BF0A2B32
	s_cselect_b32 s54, s54, 0                                  // 000000003930: 85368036
	s_add_u32 s50, 0x180, s42                                  // 000000003934: 80322AFF 00000180
	s_cmp_lt_u32 s50, s43                                      // 00000000393C: BF0A2B32
	s_cselect_b32 s55, s55, 0                                  // 000000003940: 85378037
	s_add_u32 s50, 0x200, s42                                  // 000000003944: 80322AFF 00000200
	s_cmp_lt_u32 s50, s43                                      // 00000000394C: BF0A2B32
	s_cselect_b32 s56, s56, 0                                  // 000000003950: 85388038
	s_add_u32 s50, 0x180, s42                                  // 000000003954: 80322AFF 00000180
	s_cmp_lt_u32 s50, s43                                      // 00000000395C: BF0A2B32
	s_cselect_b32 s57, s57, 0                                  // 000000003960: 85398039
	v_mfma_f32_16x16x32_fp8_fp8 v[84:87], a[44:45], a[84:85], v[84:87]// 000000003964: D3F30054 1D52A92C
	v_mfma_f32_16x16x32_fp8_fp8 v[84:87], a[46:47], a[86:87], v[84:87]// 00000000396C: D3F30054 1D52AD2E
	buffer_load_dword v159, v171, s[24:27], 0 offen            // 000000003974: E0501000 80069FAB
	s_add_u32 s4, s54, s4                                      // 00000000397C: 80040436
	s_addc_u32 s5, 0, s5                                       // 000000003980: 82050580
	s_sub_u32 s6, s6, s54                                      // 000000003984: 80863606
	s_add_u32 s8, s55, s8                                      // 000000003988: 80080837
	s_addc_u32 s9, 0, s9                                       // 00000000398C: 82090980
	s_sub_u32 s10, s10, s55                                    // 000000003990: 808A370A
	s_add_u32 s20, s56, s20                                    // 000000003994: 80141438
	s_addc_u32 s21, 0, s21                                     // 000000003998: 82151580
	s_add_u32 s24, s57, s24                                    // 00000000399C: 80181839
	s_addc_u32 s25, 0, s25                                     // 0000000039A0: 82191980
	s_sub_u32 s26, s26, s57                                    // 0000000039A4: 809A391A
	v_pk_fma_f32 v[120:121], v[4:5], v[80:81], v[120:121]      // 0000000039A8: D3B04078 1DE2A104
	v_pk_fma_f32 v[122:123], v[4:5], v[82:83], v[122:123]      // 0000000039B0: D3B0407A 1DEAA504
	v_pk_fma_f32 v[124:125], v[4:5], v[84:85], v[124:125]      // 0000000039B8: D3B0407C 1DF2A904
	v_pk_fma_f32 v[126:127], v[4:5], v[86:87], v[126:127]      // 0000000039C0: D3B0407E 1DFAAD04
	s_addk_i32 s42, 0x80                                       // 0000000039C8: B72A0080
	s_cmp_lt_i32 s42, s43                                      // 0000000039CC: BF042B2A
	s_cbranch_scc0 label_0889                                  // 0000000039D0: BF8402D4
	s_waitcnt vmcnt(19) lgkmcnt(0)                             // 0000000039D4: BF8C4073
	s_barrier                                                  // 0000000039D8: BF8A0000
	v_mfma_f32_16x16x32_fp8_fp8 v[48:51], a[0:1], a[88:89], 0  // 0000000039DC: D3F30030 1A02B100
	s_add_u32 m0, 0, s58                                       // 0000000039E4: 807C3A80
	buffer_load_dword v36, s[4:7], 0 offen lds                 // 0000000039E8: E0511000 80010024
	v_mfma_f32_16x16x32_fp8_fp8 v[48:51], a[2:3], a[90:91], v[48:51]// 0000000039F0: D3F30030 1CC2B502
	ds_read_b128 a[48:51], v46 offset:10368                    // 0000000039F8: DBFE2880 3000002E
	v_mfma_f32_16x16x32_fp8_fp8 v[48:51], a[4:5], a[92:93], v[48:51]// 000000003A00: D3F30030 1CC2B904
	s_add_u32 m0, 0x100, s58                                   // 000000003A08: 807C3AFF 00000100
	buffer_load_dword v37, s[4:7], 0 offen lds                 // 000000003A10: E0511000 80010025
	v_mfma_f32_16x16x32_fp8_fp8 v[48:51], a[6:7], a[94:95], v[48:51]// 000000003A18: D3F30030 1CC2BD06
	ds_read_b128 a[52:55], v46 offset:10432                    // 000000003A20: DBFE28C0 3400002E
	v_mul_f32_e32 v4, v158, v128                               // 000000003A28: 0A09019E
	v_mov_b32_e32 v5, v4                                       // 000000003A2C: 7E0A0304
	v_mfma_f32_16x16x32_fp8_fp8 v[52:55], a[8:9], a[88:89], 0  // 000000003A30: D3F30034 1A02B108
	buffer_load_dwordx4 a[32:35], v32, s[8:11], 0 offen        // 000000003A38: E05C1000 80822020
	v_mfma_f32_16x16x32_fp8_fp8 v[52:55], a[10:11], a[90:91], v[52:55]// 000000003A40: D3F30034 1CD2B50A
	buffer_load_dword v128, v161, s[20:23], 0 offen            // 000000003A48: E0501000 800580A1
	v_mfma_f32_16x16x32_fp8_fp8 v[52:55], a[12:13], a[92:93], v[52:55]// 000000003A50: D3F30034 1CD2B90C
	buffer_load_dwordx4 a[36:39], v33, s[8:11], 0 offen        // 000000003A58: E05C1000 80822421
	v_mfma_f32_16x16x32_fp8_fp8 v[52:55], a[14:15], a[94:95], v[52:55]// 000000003A60: D3F30034 1CD2BD0E
	v_pk_fma_f32 v[88:89], v[4:5], v[48:49], v[88:89]          // 000000003A68: D3B04058 1D626104
	v_pk_fma_f32 v[90:91], v[4:5], v[50:51], v[90:91]          // 000000003A70: D3B0405A 1D6A6504
	v_pk_fma_f32 v[92:93], v[4:5], v[52:53], v[92:93]          // 000000003A78: D3B0405C 1D726904
	v_pk_fma_f32 v[94:95], v[4:5], v[54:55], v[94:95]          // 000000003A80: D3B0405E 1D7A6D04
	v_mfma_f32_16x16x32_fp8_fp8 v[56:59], a[0:1], a[96:97], 0  // 000000003A88: D3F30038 1A02C100
	s_add_u32 m0, 0x200, s58                                   // 000000003A90: 807C3AFF 00000200
	buffer_load_dword v38, s[4:7], 0 offen lds                 // 000000003A98: E0511000 80010026
	v_mfma_f32_16x16x32_fp8_fp8 v[56:59], a[2:3], a[98:99], v[56:59]// 000000003AA0: D3F30038 1CE2C502
	ds_read_b128 a[56:59], v46 offset:10880                    // 000000003AA8: DBFE2A80 3800002E
	v_mfma_f32_16x16x32_fp8_fp8 v[56:59], a[4:5], a[100:101], v[56:59]// 000000003AB0: D3F30038 1CE2C904
	s_add_u32 m0, 0x300, s58                                   // 000000003AB8: 807C3AFF 00000300
	buffer_load_dword v39, s[4:7], 0 offen lds                 // 000000003AC0: E0511000 80010027
	v_mfma_f32_16x16x32_fp8_fp8 v[56:59], a[6:7], a[102:103], v[56:59]// 000000003AC8: D3F30038 1CE2CD06
	ds_read_b128 a[60:63], v46 offset:10944                    // 000000003AD0: DBFE2AC0 3C00002E
	v_mul_f32_e32 v4, v158, v129                               // 000000003AD8: 0A09039E
	v_mov_b32_e32 v5, v4                                       // 000000003ADC: 7E0A0304
	v_mfma_f32_16x16x32_fp8_fp8 v[60:63], a[8:9], a[96:97], 0  // 000000003AE0: D3F3003C 1A02C108
	buffer_load_dwordx4 a[40:43], v34, s[8:11], 0 offen        // 000000003AE8: E05C1000 80822822
	v_mfma_f32_16x16x32_fp8_fp8 v[60:63], a[10:11], a[98:99], v[60:63]// 000000003AF0: D3F3003C 1CF2C50A
	buffer_load_dword v129, v162, s[20:23], 0 offen            // 000000003AF8: E0501000 800581A2
	v_mfma_f32_16x16x32_fp8_fp8 v[60:63], a[12:13], a[100:101], v[60:63]// 000000003B00: D3F3003C 1CF2C90C
	buffer_load_dwordx4 a[44:47], v35, s[8:11], 0 offen        // 000000003B08: E05C1000 80822C23
	v_mfma_f32_16x16x32_fp8_fp8 v[60:63], a[14:15], a[102:103], v[60:63]// 000000003B10: D3F3003C 1CF2CD0E
	v_pk_fma_f32 v[96:97], v[4:5], v[56:57], v[96:97]          // 000000003B18: D3B04060 1D827104
	v_pk_fma_f32 v[98:99], v[4:5], v[58:59], v[98:99]          // 000000003B20: D3B04062 1D8A7504
	v_pk_fma_f32 v[100:101], v[4:5], v[60:61], v[100:101]      // 000000003B28: D3B04064 1D927904
	v_pk_fma_f32 v[102:103], v[4:5], v[62:63], v[102:103]      // 000000003B30: D3B04066 1D9A7D04
	v_mfma_f32_16x16x32_fp8_fp8 v[64:67], a[0:1], a[104:105], 0// 000000003B38: D3F30040 1A02D100
	s_add_u32 m0, 0x400, s58                                   // 000000003B40: 807C3AFF 00000400
	buffer_load_dword v40, s[4:7], 0 offen lds                 // 000000003B48: E0511000 80010028
	v_mfma_f32_16x16x32_fp8_fp8 v[64:67], a[2:3], a[106:107], v[64:67]// 000000003B50: D3F30040 1D02D502
	ds_read_b128 a[64:67], v46 offset:11392                    // 000000003B58: DBFE2C80 4000002E
	v_mfma_f32_16x16x32_fp8_fp8 v[64:67], a[4:5], a[108:109], v[64:67]// 000000003B60: D3F30040 1D02D904
	s_add_u32 m0, 0x500, s58                                   // 000000003B68: 807C3AFF 00000500
	buffer_load_dword v41, s[4:7], 0 offen lds                 // 000000003B70: E0511000 80010029
	v_mfma_f32_16x16x32_fp8_fp8 v[64:67], a[6:7], a[110:111], v[64:67]// 000000003B78: D3F30040 1D02DD06
	ds_read_b128 a[68:71], v46 offset:11456                    // 000000003B80: DBFE2CC0 4400002E
	v_mul_f32_e32 v4, v158, v130                               // 000000003B88: 0A09059E
	v_mov_b32_e32 v5, v4                                       // 000000003B8C: 7E0A0304
	v_mfma_f32_16x16x32_fp8_fp8 v[68:71], a[8:9], a[104:105], 0// 000000003B90: D3F30044 1A02D108
	v_mfma_f32_16x16x32_fp8_fp8 v[68:71], a[10:11], a[106:107], v[68:71]// 000000003B98: D3F30044 1D12D50A
	buffer_load_dword v130, v163, s[20:23], 0 offen            // 000000003BA0: E0501000 800582A3
	v_mfma_f32_16x16x32_fp8_fp8 v[68:71], a[12:13], a[108:109], v[68:71]// 000000003BA8: D3F30044 1D12D90C
	v_mfma_f32_16x16x32_fp8_fp8 v[68:71], a[14:15], a[110:111], v[68:71]// 000000003BB0: D3F30044 1D12DD0E
	v_pk_fma_f32 v[104:105], v[4:5], v[64:65], v[104:105]      // 000000003BB8: D3B04068 1DA28104
	v_pk_fma_f32 v[106:107], v[4:5], v[66:67], v[106:107]      // 000000003BC0: D3B0406A 1DAA8504
	v_pk_fma_f32 v[108:109], v[4:5], v[68:69], v[108:109]      // 000000003BC8: D3B0406C 1DB28904
	v_pk_fma_f32 v[110:111], v[4:5], v[70:71], v[110:111]      // 000000003BD0: D3B0406E 1DBA8D04
	v_mfma_f32_16x16x32_fp8_fp8 v[72:75], a[0:1], a[112:113], 0// 000000003BD8: D3F30048 1A02E100
	s_add_u32 m0, 0x600, s58                                   // 000000003BE0: 807C3AFF 00000600
	buffer_load_dword v42, s[4:7], 0 offen lds                 // 000000003BE8: E0511000 8001002A
	v_mfma_f32_16x16x32_fp8_fp8 v[72:75], a[2:3], a[114:115], v[72:75]// 000000003BF0: D3F30048 1D22E502
	ds_read_b128 a[72:75], v46 offset:11904                    // 000000003BF8: DBFE2E80 4800002E
	v_mfma_f32_16x16x32_fp8_fp8 v[72:75], a[4:5], a[116:117], v[72:75]// 000000003C00: D3F30048 1D22E904
	s_add_u32 m0, 0x700, s58                                   // 000000003C08: 807C3AFF 00000700
	buffer_load_dword v43, s[4:7], 0 offen lds                 // 000000003C10: E0511000 8001002B
	v_mfma_f32_16x16x32_fp8_fp8 v[72:75], a[6:7], a[118:119], v[72:75]// 000000003C18: D3F30048 1D22ED06
	ds_read_b128 a[76:79], v46 offset:11968                    // 000000003C20: DBFE2EC0 4C00002E
	v_mul_f32_e32 v4, v158, v131                               // 000000003C28: 0A09079E
	v_mov_b32_e32 v5, v4                                       // 000000003C2C: 7E0A0304
	v_mfma_f32_16x16x32_fp8_fp8 v[76:79], a[8:9], a[112:113], 0// 000000003C30: D3F3004C 1A02E108
	v_mfma_f32_16x16x32_fp8_fp8 v[76:79], a[10:11], a[114:115], v[76:79]// 000000003C38: D3F3004C 1D32E50A
	buffer_load_dword v131, v164, s[20:23], 0 offen            // 000000003C40: E0501000 800583A4
	v_mfma_f32_16x16x32_fp8_fp8 v[76:79], a[12:13], a[116:117], v[76:79]// 000000003C48: D3F3004C 1D32E90C
	v_mfma_f32_16x16x32_fp8_fp8 v[76:79], a[14:15], a[118:119], v[76:79]// 000000003C50: D3F3004C 1D32ED0E
	v_pk_fma_f32 v[112:113], v[4:5], v[72:73], v[112:113]      // 000000003C58: D3B04070 1DC29104
	v_pk_fma_f32 v[114:115], v[4:5], v[74:75], v[114:115]      // 000000003C60: D3B04072 1DCA9504
	v_pk_fma_f32 v[116:117], v[4:5], v[76:77], v[116:117]      // 000000003C68: D3B04074 1DD29904
	v_pk_fma_f32 v[118:119], v[4:5], v[78:79], v[118:119]      // 000000003C70: D3B04076 1DDA9D04
	v_mfma_f32_16x16x32_fp8_fp8 v[80:83], a[0:1], a[120:121], 0// 000000003C78: D3F30050 1A02F100
	s_add_u32 m0, 0x800, s58                                   // 000000003C80: 807C3AFF 00000800
	buffer_load_dword v44, s[4:7], 0 offen lds                 // 000000003C88: E0511000 8001002C
	v_mfma_f32_16x16x32_fp8_fp8 v[80:83], a[2:3], a[122:123], v[80:83]// 000000003C90: D3F30050 1D42F502
	ds_read_b128 a[80:83], v46 offset:12416                    // 000000003C98: DBFE3080 5000002E
	v_mfma_f32_16x16x32_fp8_fp8 v[80:83], a[4:5], a[124:125], v[80:83]// 000000003CA0: D3F30050 1D42F904
	s_add_u32 m0, 0x900, s58                                   // 000000003CA8: 807C3AFF 00000900
	buffer_load_dword v45, s[4:7], 0 offen lds                 // 000000003CB0: E0511000 8001002D
	v_mfma_f32_16x16x32_fp8_fp8 v[80:83], a[6:7], a[126:127], v[80:83]// 000000003CB8: D3F30050 1D42FD06
	ds_read_b128 a[84:87], v46 offset:12480                    // 000000003CC0: DBFE30C0 5400002E
	v_mul_f32_e32 v4, v158, v132                               // 000000003CC8: 0A09099E
	v_mov_b32_e32 v5, v4                                       // 000000003CCC: 7E0A0304
	v_mfma_f32_16x16x32_fp8_fp8 v[84:87], a[8:9], a[120:121], 0// 000000003CD0: D3F30054 1A02F108
	v_mfma_f32_16x16x32_fp8_fp8 v[84:87], a[10:11], a[122:123], v[84:87]// 000000003CD8: D3F30054 1D52F50A
	buffer_load_dword v132, v165, s[20:23], 0 offen            // 000000003CE0: E0501000 800584A5
	s_add_u32 s50, 0x200, s42                                  // 000000003CE8: 80322AFF 00000200
	s_cmp_lt_u32 s50, s43                                      // 000000003CF0: BF0A2B32
	s_cselect_b32 s54, s54, 0                                  // 000000003CF4: 85368036
	s_add_u32 s50, 0x180, s42                                  // 000000003CF8: 80322AFF 00000180
	s_cmp_lt_u32 s50, s43                                      // 000000003D00: BF0A2B32
	s_cselect_b32 s55, s55, 0                                  // 000000003D04: 85378037
	s_add_u32 s50, 0x200, s42                                  // 000000003D08: 80322AFF 00000200
	s_cmp_lt_u32 s50, s43                                      // 000000003D10: BF0A2B32
	s_cselect_b32 s56, s56, 0                                  // 000000003D14: 85388038
	s_add_u32 s50, 0x180, s42                                  // 000000003D18: 80322AFF 00000180
	s_cmp_lt_u32 s50, s43                                      // 000000003D20: BF0A2B32
	s_cselect_b32 s57, s57, 0                                  // 000000003D24: 85398039
	v_mfma_f32_16x16x32_fp8_fp8 v[84:87], a[12:13], a[124:125], v[84:87]// 000000003D28: D3F30054 1D52F90C
	v_mfma_f32_16x16x32_fp8_fp8 v[84:87], a[14:15], a[126:127], v[84:87]// 000000003D30: D3F30054 1D52FD0E
	buffer_load_dword v160, v171, s[24:27], 0 offen            // 000000003D38: E0501000 8006A0AB
	s_add_u32 s4, s54, s4                                      // 000000003D40: 80040436
	s_addc_u32 s5, 0, s5                                       // 000000003D44: 82050580
	s_sub_u32 s6, s6, s54                                      // 000000003D48: 80863606
	s_add_u32 s8, s55, s8                                      // 000000003D4C: 80080837
	s_addc_u32 s9, 0, s9                                       // 000000003D50: 82090980
	s_sub_u32 s10, s10, s55                                    // 000000003D54: 808A370A
	s_add_u32 s20, s56, s20                                    // 000000003D58: 80141438
	s_addc_u32 s21, 0, s21                                     // 000000003D5C: 82151580
	s_add_u32 s24, s57, s24                                    // 000000003D60: 80181839
	s_addc_u32 s25, 0, s25                                     // 000000003D64: 82191980
	s_sub_u32 s26, s26, s57                                    // 000000003D68: 809A391A
	v_pk_fma_f32 v[120:121], v[4:5], v[80:81], v[120:121]      // 000000003D6C: D3B04078 1DE2A104
	v_pk_fma_f32 v[122:123], v[4:5], v[82:83], v[122:123]      // 000000003D74: D3B0407A 1DEAA504
	v_pk_fma_f32 v[124:125], v[4:5], v[84:85], v[124:125]      // 000000003D7C: D3B0407C 1DF2A904
	v_pk_fma_f32 v[126:127], v[4:5], v[86:87], v[126:127]      // 000000003D84: D3B0407E 1DFAAD04
	s_addk_i32 s42, 0x80                                       // 000000003D8C: B72A0080
	s_cmp_lt_i32 s42, s43                                      // 000000003D90: BF042B2A
	s_cbranch_scc0 label_0889                                  // 000000003D94: BF8401E3
	s_waitcnt vmcnt(19) lgkmcnt(0)                             // 000000003D98: BF8C4073
	s_barrier                                                  // 000000003D9C: BF8A0000
	v_mfma_f32_16x16x32_fp8_fp8 v[48:51], a[16:17], a[48:49], 0// 000000003DA0: D3F30030 1A026110
	s_add_u32 m0, 0, s59                                       // 000000003DA8: 807C3B80
	buffer_load_dword v36, s[4:7], 0 offen lds                 // 000000003DAC: E0511000 80010024
	v_mfma_f32_16x16x32_fp8_fp8 v[48:51], a[18:19], a[50:51], v[48:51]// 000000003DB4: D3F30030 1CC26512
	ds_read_b128 a[88:91], v46 offset:20736                    // 000000003DBC: DBFE5100 5800002E
	v_mfma_f32_16x16x32_fp8_fp8 v[48:51], a[20:21], a[52:53], v[48:51]// 000000003DC4: D3F30030 1CC26914
	s_add_u32 m0, 0x100, s59                                   // 000000003DCC: 807C3BFF 00000100
	buffer_load_dword v37, s[4:7], 0 offen lds                 // 000000003DD4: E0511000 80010025
	v_mfma_f32_16x16x32_fp8_fp8 v[48:51], a[22:23], a[54:55], v[48:51]// 000000003DDC: D3F30030 1CC26D16
	ds_read_b128 a[92:95], v46 offset:20800                    // 000000003DE4: DBFE5140 5C00002E
	v_mul_f32_e32 v4, v159, v133                               // 000000003DEC: 0A090B9F
	v_mov_b32_e32 v5, v4                                       // 000000003DF0: 7E0A0304
	v_mfma_f32_16x16x32_fp8_fp8 v[52:55], a[24:25], a[48:49], 0// 000000003DF4: D3F30034 1A026118
	buffer_load_dwordx4 a[0:3], v32, s[8:11], 0 offen          // 000000003DFC: E05C1000 80820020
	v_mfma_f32_16x16x32_fp8_fp8 v[52:55], a[26:27], a[50:51], v[52:55]// 000000003E04: D3F30034 1CD2651A
	buffer_load_dword v133, v161, s[20:23], 0 offen            // 000000003E0C: E0501000 800585A1
	v_mfma_f32_16x16x32_fp8_fp8 v[52:55], a[28:29], a[52:53], v[52:55]// 000000003E14: D3F30034 1CD2691C
	buffer_load_dwordx4 a[4:7], v33, s[8:11], 0 offen          // 000000003E1C: E05C1000 80820421
	v_mfma_f32_16x16x32_fp8_fp8 v[52:55], a[30:31], a[54:55], v[52:55]// 000000003E24: D3F30034 1CD26D1E
	v_pk_fma_f32 v[88:89], v[4:5], v[48:49], v[88:89]          // 000000003E2C: D3B04058 1D626104
	v_pk_fma_f32 v[90:91], v[4:5], v[50:51], v[90:91]          // 000000003E34: D3B0405A 1D6A6504
	v_pk_fma_f32 v[92:93], v[4:5], v[52:53], v[92:93]          // 000000003E3C: D3B0405C 1D726904
	v_pk_fma_f32 v[94:95], v[4:5], v[54:55], v[94:95]          // 000000003E44: D3B0405E 1D7A6D04
	v_mfma_f32_16x16x32_fp8_fp8 v[56:59], a[16:17], a[56:57], 0// 000000003E4C: D3F30038 1A027110
	s_add_u32 m0, 0x200, s59                                   // 000000003E54: 807C3BFF 00000200
	buffer_load_dword v38, s[4:7], 0 offen lds                 // 000000003E5C: E0511000 80010026
	v_mfma_f32_16x16x32_fp8_fp8 v[56:59], a[18:19], a[58:59], v[56:59]// 000000003E64: D3F30038 1CE27512
	ds_read_b128 a[96:99], v46 offset:21248                    // 000000003E6C: DBFE5300 6000002E
	v_mfma_f32_16x16x32_fp8_fp8 v[56:59], a[20:21], a[60:61], v[56:59]// 000000003E74: D3F30038 1CE27914
	s_add_u32 m0, 0x300, s59                                   // 000000003E7C: 807C3BFF 00000300
	buffer_load_dword v39, s[4:7], 0 offen lds                 // 000000003E84: E0511000 80010027
	v_mfma_f32_16x16x32_fp8_fp8 v[56:59], a[22:23], a[62:63], v[56:59]// 000000003E8C: D3F30038 1CE27D16
	ds_read_b128 a[100:103], v46 offset:21312                  // 000000003E94: DBFE5340 6400002E
	v_mul_f32_e32 v4, v159, v134                               // 000000003E9C: 0A090D9F
	v_mov_b32_e32 v5, v4                                       // 000000003EA0: 7E0A0304
	v_mfma_f32_16x16x32_fp8_fp8 v[60:63], a[24:25], a[56:57], 0// 000000003EA4: D3F3003C 1A027118
	buffer_load_dwordx4 a[8:11], v34, s[8:11], 0 offen         // 000000003EAC: E05C1000 80820822
	v_mfma_f32_16x16x32_fp8_fp8 v[60:63], a[26:27], a[58:59], v[60:63]// 000000003EB4: D3F3003C 1CF2751A
	buffer_load_dword v134, v162, s[20:23], 0 offen            // 000000003EBC: E0501000 800586A2
	v_mfma_f32_16x16x32_fp8_fp8 v[60:63], a[28:29], a[60:61], v[60:63]// 000000003EC4: D3F3003C 1CF2791C
	buffer_load_dwordx4 a[12:15], v35, s[8:11], 0 offen        // 000000003ECC: E05C1000 80820C23
	v_mfma_f32_16x16x32_fp8_fp8 v[60:63], a[30:31], a[62:63], v[60:63]// 000000003ED4: D3F3003C 1CF27D1E
	v_pk_fma_f32 v[96:97], v[4:5], v[56:57], v[96:97]          // 000000003EDC: D3B04060 1D827104
	v_pk_fma_f32 v[98:99], v[4:5], v[58:59], v[98:99]          // 000000003EE4: D3B04062 1D8A7504
	v_pk_fma_f32 v[100:101], v[4:5], v[60:61], v[100:101]      // 000000003EEC: D3B04064 1D927904
	v_pk_fma_f32 v[102:103], v[4:5], v[62:63], v[102:103]      // 000000003EF4: D3B04066 1D9A7D04
	v_mfma_f32_16x16x32_fp8_fp8 v[64:67], a[16:17], a[64:65], 0// 000000003EFC: D3F30040 1A028110
	s_add_u32 m0, 0x400, s59                                   // 000000003F04: 807C3BFF 00000400
	buffer_load_dword v40, s[4:7], 0 offen lds                 // 000000003F0C: E0511000 80010028
	v_mfma_f32_16x16x32_fp8_fp8 v[64:67], a[18:19], a[66:67], v[64:67]// 000000003F14: D3F30040 1D028512
	ds_read_b128 a[104:107], v46 offset:21760                  // 000000003F1C: DBFE5500 6800002E
	v_mfma_f32_16x16x32_fp8_fp8 v[64:67], a[20:21], a[68:69], v[64:67]// 000000003F24: D3F30040 1D028914
	s_add_u32 m0, 0x500, s59                                   // 000000003F2C: 807C3BFF 00000500
	buffer_load_dword v41, s[4:7], 0 offen lds                 // 000000003F34: E0511000 80010029
	v_mfma_f32_16x16x32_fp8_fp8 v[64:67], a[22:23], a[70:71], v[64:67]// 000000003F3C: D3F30040 1D028D16
	ds_read_b128 a[108:111], v46 offset:21824                  // 000000003F44: DBFE5540 6C00002E
	v_mul_f32_e32 v4, v159, v135                               // 000000003F4C: 0A090F9F
	v_mov_b32_e32 v5, v4                                       // 000000003F50: 7E0A0304
	v_mfma_f32_16x16x32_fp8_fp8 v[68:71], a[24:25], a[64:65], 0// 000000003F54: D3F30044 1A028118
	v_mfma_f32_16x16x32_fp8_fp8 v[68:71], a[26:27], a[66:67], v[68:71]// 000000003F5C: D3F30044 1D12851A
	buffer_load_dword v135, v163, s[20:23], 0 offen            // 000000003F64: E0501000 800587A3
	v_mfma_f32_16x16x32_fp8_fp8 v[68:71], a[28:29], a[68:69], v[68:71]// 000000003F6C: D3F30044 1D12891C
	v_mfma_f32_16x16x32_fp8_fp8 v[68:71], a[30:31], a[70:71], v[68:71]// 000000003F74: D3F30044 1D128D1E
	v_pk_fma_f32 v[104:105], v[4:5], v[64:65], v[104:105]      // 000000003F7C: D3B04068 1DA28104
	v_pk_fma_f32 v[106:107], v[4:5], v[66:67], v[106:107]      // 000000003F84: D3B0406A 1DAA8504
	v_pk_fma_f32 v[108:109], v[4:5], v[68:69], v[108:109]      // 000000003F8C: D3B0406C 1DB28904
	v_pk_fma_f32 v[110:111], v[4:5], v[70:71], v[110:111]      // 000000003F94: D3B0406E 1DBA8D04
	v_mfma_f32_16x16x32_fp8_fp8 v[72:75], a[16:17], a[72:73], 0// 000000003F9C: D3F30048 1A029110
	s_add_u32 m0, 0x600, s59                                   // 000000003FA4: 807C3BFF 00000600
	buffer_load_dword v42, s[4:7], 0 offen lds                 // 000000003FAC: E0511000 8001002A
	v_mfma_f32_16x16x32_fp8_fp8 v[72:75], a[18:19], a[74:75], v[72:75]// 000000003FB4: D3F30048 1D229512
	ds_read_b128 a[112:115], v46 offset:22272                  // 000000003FBC: DBFE5700 7000002E
	v_mfma_f32_16x16x32_fp8_fp8 v[72:75], a[20:21], a[76:77], v[72:75]// 000000003FC4: D3F30048 1D229914
	s_add_u32 m0, 0x700, s59                                   // 000000003FCC: 807C3BFF 00000700
	buffer_load_dword v43, s[4:7], 0 offen lds                 // 000000003FD4: E0511000 8001002B
	v_mfma_f32_16x16x32_fp8_fp8 v[72:75], a[22:23], a[78:79], v[72:75]// 000000003FDC: D3F30048 1D229D16
	ds_read_b128 a[116:119], v46 offset:22336                  // 000000003FE4: DBFE5740 7400002E
	v_mul_f32_e32 v4, v159, v136                               // 000000003FEC: 0A09119F
	v_mov_b32_e32 v5, v4                                       // 000000003FF0: 7E0A0304
	v_mfma_f32_16x16x32_fp8_fp8 v[76:79], a[24:25], a[72:73], 0// 000000003FF4: D3F3004C 1A029118
	v_mfma_f32_16x16x32_fp8_fp8 v[76:79], a[26:27], a[74:75], v[76:79]// 000000003FFC: D3F3004C 1D32951A
	buffer_load_dword v136, v164, s[20:23], 0 offen            // 000000004004: E0501000 800588A4
	v_mfma_f32_16x16x32_fp8_fp8 v[76:79], a[28:29], a[76:77], v[76:79]// 00000000400C: D3F3004C 1D32991C
	v_mfma_f32_16x16x32_fp8_fp8 v[76:79], a[30:31], a[78:79], v[76:79]// 000000004014: D3F3004C 1D329D1E
	v_pk_fma_f32 v[112:113], v[4:5], v[72:73], v[112:113]      // 00000000401C: D3B04070 1DC29104
	v_pk_fma_f32 v[114:115], v[4:5], v[74:75], v[114:115]      // 000000004024: D3B04072 1DCA9504
	v_pk_fma_f32 v[116:117], v[4:5], v[76:77], v[116:117]      // 00000000402C: D3B04074 1DD29904
	v_pk_fma_f32 v[118:119], v[4:5], v[78:79], v[118:119]      // 000000004034: D3B04076 1DDA9D04
	v_mfma_f32_16x16x32_fp8_fp8 v[80:83], a[16:17], a[80:81], 0// 00000000403C: D3F30050 1A02A110
	s_add_u32 m0, 0x800, s59                                   // 000000004044: 807C3BFF 00000800
	buffer_load_dword v44, s[4:7], 0 offen lds                 // 00000000404C: E0511000 8001002C
	v_mfma_f32_16x16x32_fp8_fp8 v[80:83], a[18:19], a[82:83], v[80:83]// 000000004054: D3F30050 1D42A512
	ds_read_b128 a[120:123], v46 offset:22784                  // 00000000405C: DBFE5900 7800002E
	v_mfma_f32_16x16x32_fp8_fp8 v[80:83], a[20:21], a[84:85], v[80:83]// 000000004064: D3F30050 1D42A914
	s_add_u32 m0, 0x900, s59                                   // 00000000406C: 807C3BFF 00000900
	buffer_load_dword v45, s[4:7], 0 offen lds                 // 000000004074: E0511000 8001002D
	v_mfma_f32_16x16x32_fp8_fp8 v[80:83], a[22:23], a[86:87], v[80:83]// 00000000407C: D3F30050 1D42AD16
	ds_read_b128 a[124:127], v46 offset:22848                  // 000000004084: DBFE5940 7C00002E
	v_mul_f32_e32 v4, v159, v137                               // 00000000408C: 0A09139F
	v_mov_b32_e32 v5, v4                                       // 000000004090: 7E0A0304
	v_mfma_f32_16x16x32_fp8_fp8 v[84:87], a[24:25], a[80:81], 0// 000000004094: D3F30054 1A02A118
	v_mfma_f32_16x16x32_fp8_fp8 v[84:87], a[26:27], a[82:83], v[84:87]// 00000000409C: D3F30054 1D52A51A
	buffer_load_dword v137, v165, s[20:23], 0 offen            // 0000000040A4: E0501000 800589A5
	s_add_u32 s50, 0x200, s42                                  // 0000000040AC: 80322AFF 00000200
	s_cmp_lt_u32 s50, s43                                      // 0000000040B4: BF0A2B32
	s_cselect_b32 s54, s54, 0                                  // 0000000040B8: 85368036
	s_add_u32 s50, 0x180, s42                                  // 0000000040BC: 80322AFF 00000180
	s_cmp_lt_u32 s50, s43                                      // 0000000040C4: BF0A2B32
	s_cselect_b32 s55, s55, 0                                  // 0000000040C8: 85378037
	s_add_u32 s50, 0x200, s42                                  // 0000000040CC: 80322AFF 00000200
	s_cmp_lt_u32 s50, s43                                      // 0000000040D4: BF0A2B32
	s_cselect_b32 s56, s56, 0                                  // 0000000040D8: 85388038
	s_add_u32 s50, 0x180, s42                                  // 0000000040DC: 80322AFF 00000180
	s_cmp_lt_u32 s50, s43                                      // 0000000040E4: BF0A2B32
	s_cselect_b32 s57, s57, 0                                  // 0000000040E8: 85398039
	v_mfma_f32_16x16x32_fp8_fp8 v[84:87], a[28:29], a[84:85], v[84:87]// 0000000040EC: D3F30054 1D52A91C
	v_mfma_f32_16x16x32_fp8_fp8 v[84:87], a[30:31], a[86:87], v[84:87]// 0000000040F4: D3F30054 1D52AD1E
	buffer_load_dword v158, v171, s[24:27], 0 offen            // 0000000040FC: E0501000 80069EAB
	s_add_u32 s4, s54, s4                                      // 000000004104: 80040436
	s_addc_u32 s5, 0, s5                                       // 000000004108: 82050580
	s_sub_u32 s6, s6, s54                                      // 00000000410C: 80863606
	s_add_u32 s8, s55, s8                                      // 000000004110: 80080837
	s_addc_u32 s9, 0, s9                                       // 000000004114: 82090980
	s_sub_u32 s10, s10, s55                                    // 000000004118: 808A370A
	s_add_u32 s20, s56, s20                                    // 00000000411C: 80141438
	s_addc_u32 s21, 0, s21                                     // 000000004120: 82151580
	s_add_u32 s24, s57, s24                                    // 000000004124: 80181839
	s_addc_u32 s25, 0, s25                                     // 000000004128: 82191980
	s_sub_u32 s26, s26, s57                                    // 00000000412C: 809A391A
	v_pk_fma_f32 v[120:121], v[4:5], v[80:81], v[120:121]      // 000000004130: D3B04078 1DE2A104
	v_pk_fma_f32 v[122:123], v[4:5], v[82:83], v[122:123]      // 000000004138: D3B0407A 1DEAA504
	v_pk_fma_f32 v[124:125], v[4:5], v[84:85], v[124:125]      // 000000004140: D3B0407C 1DF2A904
	v_pk_fma_f32 v[126:127], v[4:5], v[86:87], v[126:127]      // 000000004148: D3B0407E 1DFAAD04
	s_addk_i32 s42, 0x80                                       // 000000004150: B72A0080
	s_cmp_lt_i32 s42, s43                                      // 000000004154: BF042B2A
	s_cbranch_scc0 label_0889                                  // 000000004158: BF8400F2
	s_waitcnt vmcnt(19) lgkmcnt(0)                             // 00000000415C: BF8C4073
	s_barrier                                                  // 000000004160: BF8A0000
	v_mfma_f32_16x16x32_fp8_fp8 v[48:51], a[32:33], a[88:89], 0// 000000004164: D3F30030 1A02B120
	s_add_u32 m0, 0, s60                                       // 00000000416C: 807C3C80
	buffer_load_dword v36, s[4:7], 0 offen lds                 // 000000004170: E0511000 80010024
	v_mfma_f32_16x16x32_fp8_fp8 v[48:51], a[34:35], a[90:91], v[48:51]// 000000004178: D3F30030 1CC2B522
	ds_read_b128 a[48:51], v46                                 // 000000004180: DBFE0000 3000002E
	v_mfma_f32_16x16x32_fp8_fp8 v[48:51], a[36:37], a[92:93], v[48:51]// 000000004188: D3F30030 1CC2B924
	s_add_u32 m0, 0x100, s60                                   // 000000004190: 807C3CFF 00000100
	buffer_load_dword v37, s[4:7], 0 offen lds                 // 000000004198: E0511000 80010025
	v_mfma_f32_16x16x32_fp8_fp8 v[48:51], a[38:39], a[94:95], v[48:51]// 0000000041A0: D3F30030 1CC2BD26
	ds_read_b128 a[52:55], v46 offset:64                       // 0000000041A8: DBFE0040 3400002E
	v_mul_f32_e32 v4, v160, v138                               // 0000000041B0: 0A0915A0
	v_mov_b32_e32 v5, v4                                       // 0000000041B4: 7E0A0304
	v_mfma_f32_16x16x32_fp8_fp8 v[52:55], a[40:41], a[88:89], 0// 0000000041B8: D3F30034 1A02B128
	buffer_load_dwordx4 a[16:19], v32, s[8:11], 0 offen        // 0000000041C0: E05C1000 80821020
	v_mfma_f32_16x16x32_fp8_fp8 v[52:55], a[42:43], a[90:91], v[52:55]// 0000000041C8: D3F30034 1CD2B52A
	buffer_load_dword v138, v161, s[20:23], 0 offen            // 0000000041D0: E0501000 80058AA1
	v_mfma_f32_16x16x32_fp8_fp8 v[52:55], a[44:45], a[92:93], v[52:55]// 0000000041D8: D3F30034 1CD2B92C
	buffer_load_dwordx4 a[20:23], v33, s[8:11], 0 offen        // 0000000041E0: E05C1000 80821421
	v_mfma_f32_16x16x32_fp8_fp8 v[52:55], a[46:47], a[94:95], v[52:55]// 0000000041E8: D3F30034 1CD2BD2E
	v_pk_fma_f32 v[88:89], v[4:5], v[48:49], v[88:89]          // 0000000041F0: D3B04058 1D626104
	v_pk_fma_f32 v[90:91], v[4:5], v[50:51], v[90:91]          // 0000000041F8: D3B0405A 1D6A6504
	v_pk_fma_f32 v[92:93], v[4:5], v[52:53], v[92:93]          // 000000004200: D3B0405C 1D726904
	v_pk_fma_f32 v[94:95], v[4:5], v[54:55], v[94:95]          // 000000004208: D3B0405E 1D7A6D04
	v_mfma_f32_16x16x32_fp8_fp8 v[56:59], a[32:33], a[96:97], 0// 000000004210: D3F30038 1A02C120
	s_add_u32 m0, 0x200, s60                                   // 000000004218: 807C3CFF 00000200
	buffer_load_dword v38, s[4:7], 0 offen lds                 // 000000004220: E0511000 80010026
	v_mfma_f32_16x16x32_fp8_fp8 v[56:59], a[34:35], a[98:99], v[56:59]// 000000004228: D3F30038 1CE2C522
	ds_read_b128 a[56:59], v46 offset:512                      // 000000004230: DBFE0200 3800002E
	v_mfma_f32_16x16x32_fp8_fp8 v[56:59], a[36:37], a[100:101], v[56:59]// 000000004238: D3F30038 1CE2C924
	s_add_u32 m0, 0x300, s60                                   // 000000004240: 807C3CFF 00000300
	buffer_load_dword v39, s[4:7], 0 offen lds                 // 000000004248: E0511000 80010027
	v_mfma_f32_16x16x32_fp8_fp8 v[56:59], a[38:39], a[102:103], v[56:59]// 000000004250: D3F30038 1CE2CD26
	ds_read_b128 a[60:63], v46 offset:576                      // 000000004258: DBFE0240 3C00002E
	v_mul_f32_e32 v4, v160, v139                               // 000000004260: 0A0917A0
	v_mov_b32_e32 v5, v4                                       // 000000004264: 7E0A0304
	v_mfma_f32_16x16x32_fp8_fp8 v[60:63], a[40:41], a[96:97], 0// 000000004268: D3F3003C 1A02C128
	buffer_load_dwordx4 a[24:27], v34, s[8:11], 0 offen        // 000000004270: E05C1000 80821822
	v_mfma_f32_16x16x32_fp8_fp8 v[60:63], a[42:43], a[98:99], v[60:63]// 000000004278: D3F3003C 1CF2C52A
	buffer_load_dword v139, v162, s[20:23], 0 offen            // 000000004280: E0501000 80058BA2
	v_mfma_f32_16x16x32_fp8_fp8 v[60:63], a[44:45], a[100:101], v[60:63]// 000000004288: D3F3003C 1CF2C92C
	buffer_load_dwordx4 a[28:31], v35, s[8:11], 0 offen        // 000000004290: E05C1000 80821C23
	v_mfma_f32_16x16x32_fp8_fp8 v[60:63], a[46:47], a[102:103], v[60:63]// 000000004298: D3F3003C 1CF2CD2E
	v_pk_fma_f32 v[96:97], v[4:5], v[56:57], v[96:97]          // 0000000042A0: D3B04060 1D827104
	v_pk_fma_f32 v[98:99], v[4:5], v[58:59], v[98:99]          // 0000000042A8: D3B04062 1D8A7504
	v_pk_fma_f32 v[100:101], v[4:5], v[60:61], v[100:101]      // 0000000042B0: D3B04064 1D927904
	v_pk_fma_f32 v[102:103], v[4:5], v[62:63], v[102:103]      // 0000000042B8: D3B04066 1D9A7D04
	v_mfma_f32_16x16x32_fp8_fp8 v[64:67], a[32:33], a[104:105], 0// 0000000042C0: D3F30040 1A02D120
	s_add_u32 m0, 0x400, s60                                   // 0000000042C8: 807C3CFF 00000400
	buffer_load_dword v40, s[4:7], 0 offen lds                 // 0000000042D0: E0511000 80010028
	v_mfma_f32_16x16x32_fp8_fp8 v[64:67], a[34:35], a[106:107], v[64:67]// 0000000042D8: D3F30040 1D02D522
	ds_read_b128 a[64:67], v46 offset:1024                     // 0000000042E0: DBFE0400 4000002E
	v_mfma_f32_16x16x32_fp8_fp8 v[64:67], a[36:37], a[108:109], v[64:67]// 0000000042E8: D3F30040 1D02D924
	s_add_u32 m0, 0x500, s60                                   // 0000000042F0: 807C3CFF 00000500
	buffer_load_dword v41, s[4:7], 0 offen lds                 // 0000000042F8: E0511000 80010029
	v_mfma_f32_16x16x32_fp8_fp8 v[64:67], a[38:39], a[110:111], v[64:67]// 000000004300: D3F30040 1D02DD26
	ds_read_b128 a[68:71], v46 offset:1088                     // 000000004308: DBFE0440 4400002E
	v_mul_f32_e32 v4, v160, v140                               // 000000004310: 0A0919A0
	v_mov_b32_e32 v5, v4                                       // 000000004314: 7E0A0304
	v_mfma_f32_16x16x32_fp8_fp8 v[68:71], a[40:41], a[104:105], 0// 000000004318: D3F30044 1A02D128
	v_mfma_f32_16x16x32_fp8_fp8 v[68:71], a[42:43], a[106:107], v[68:71]// 000000004320: D3F30044 1D12D52A
	buffer_load_dword v140, v163, s[20:23], 0 offen            // 000000004328: E0501000 80058CA3
	v_mfma_f32_16x16x32_fp8_fp8 v[68:71], a[44:45], a[108:109], v[68:71]// 000000004330: D3F30044 1D12D92C
	v_mfma_f32_16x16x32_fp8_fp8 v[68:71], a[46:47], a[110:111], v[68:71]// 000000004338: D3F30044 1D12DD2E
	v_pk_fma_f32 v[104:105], v[4:5], v[64:65], v[104:105]      // 000000004340: D3B04068 1DA28104
	v_pk_fma_f32 v[106:107], v[4:5], v[66:67], v[106:107]      // 000000004348: D3B0406A 1DAA8504
	v_pk_fma_f32 v[108:109], v[4:5], v[68:69], v[108:109]      // 000000004350: D3B0406C 1DB28904
	v_pk_fma_f32 v[110:111], v[4:5], v[70:71], v[110:111]      // 000000004358: D3B0406E 1DBA8D04
	v_mfma_f32_16x16x32_fp8_fp8 v[72:75], a[32:33], a[112:113], 0// 000000004360: D3F30048 1A02E120
	s_add_u32 m0, 0x600, s60                                   // 000000004368: 807C3CFF 00000600
	buffer_load_dword v42, s[4:7], 0 offen lds                 // 000000004370: E0511000 8001002A
	v_mfma_f32_16x16x32_fp8_fp8 v[72:75], a[34:35], a[114:115], v[72:75]// 000000004378: D3F30048 1D22E522
	ds_read_b128 a[72:75], v46 offset:1536                     // 000000004380: DBFE0600 4800002E
	v_mfma_f32_16x16x32_fp8_fp8 v[72:75], a[36:37], a[116:117], v[72:75]// 000000004388: D3F30048 1D22E924
	s_add_u32 m0, 0x700, s60                                   // 000000004390: 807C3CFF 00000700
	buffer_load_dword v43, s[4:7], 0 offen lds                 // 000000004398: E0511000 8001002B
	v_mfma_f32_16x16x32_fp8_fp8 v[72:75], a[38:39], a[118:119], v[72:75]// 0000000043A0: D3F30048 1D22ED26
	ds_read_b128 a[76:79], v46 offset:1600                     // 0000000043A8: DBFE0640 4C00002E
	v_mul_f32_e32 v4, v160, v141                               // 0000000043B0: 0A091BA0
	v_mov_b32_e32 v5, v4                                       // 0000000043B4: 7E0A0304
	v_mfma_f32_16x16x32_fp8_fp8 v[76:79], a[40:41], a[112:113], 0// 0000000043B8: D3F3004C 1A02E128
	v_mfma_f32_16x16x32_fp8_fp8 v[76:79], a[42:43], a[114:115], v[76:79]// 0000000043C0: D3F3004C 1D32E52A
	buffer_load_dword v141, v164, s[20:23], 0 offen            // 0000000043C8: E0501000 80058DA4
	v_mfma_f32_16x16x32_fp8_fp8 v[76:79], a[44:45], a[116:117], v[76:79]// 0000000043D0: D3F3004C 1D32E92C
	v_mfma_f32_16x16x32_fp8_fp8 v[76:79], a[46:47], a[118:119], v[76:79]// 0000000043D8: D3F3004C 1D32ED2E
	v_pk_fma_f32 v[112:113], v[4:5], v[72:73], v[112:113]      // 0000000043E0: D3B04070 1DC29104
	v_pk_fma_f32 v[114:115], v[4:5], v[74:75], v[114:115]      // 0000000043E8: D3B04072 1DCA9504
	v_pk_fma_f32 v[116:117], v[4:5], v[76:77], v[116:117]      // 0000000043F0: D3B04074 1DD29904
	v_pk_fma_f32 v[118:119], v[4:5], v[78:79], v[118:119]      // 0000000043F8: D3B04076 1DDA9D04
	v_mfma_f32_16x16x32_fp8_fp8 v[80:83], a[32:33], a[120:121], 0// 000000004400: D3F30050 1A02F120
	s_add_u32 m0, 0x800, s60                                   // 000000004408: 807C3CFF 00000800
	buffer_load_dword v44, s[4:7], 0 offen lds                 // 000000004410: E0511000 8001002C
	v_mfma_f32_16x16x32_fp8_fp8 v[80:83], a[34:35], a[122:123], v[80:83]// 000000004418: D3F30050 1D42F522
	ds_read_b128 a[80:83], v46 offset:2048                     // 000000004420: DBFE0800 5000002E
	v_mfma_f32_16x16x32_fp8_fp8 v[80:83], a[36:37], a[124:125], v[80:83]// 000000004428: D3F30050 1D42F924
	s_add_u32 m0, 0x900, s60                                   // 000000004430: 807C3CFF 00000900
	buffer_load_dword v45, s[4:7], 0 offen lds                 // 000000004438: E0511000 8001002D
	v_mfma_f32_16x16x32_fp8_fp8 v[80:83], a[38:39], a[126:127], v[80:83]// 000000004440: D3F30050 1D42FD26
	ds_read_b128 a[84:87], v46 offset:2112                     // 000000004448: DBFE0840 5400002E
	v_mul_f32_e32 v4, v160, v142                               // 000000004450: 0A091DA0
	v_mov_b32_e32 v5, v4                                       // 000000004454: 7E0A0304
	v_mfma_f32_16x16x32_fp8_fp8 v[84:87], a[40:41], a[120:121], 0// 000000004458: D3F30054 1A02F128
	v_mfma_f32_16x16x32_fp8_fp8 v[84:87], a[42:43], a[122:123], v[84:87]// 000000004460: D3F30054 1D52F52A
	buffer_load_dword v142, v165, s[20:23], 0 offen            // 000000004468: E0501000 80058EA5
	s_add_u32 s50, 0x200, s42                                  // 000000004470: 80322AFF 00000200
	s_cmp_lt_u32 s50, s43                                      // 000000004478: BF0A2B32
	s_cselect_b32 s54, s54, 0                                  // 00000000447C: 85368036
	s_add_u32 s50, 0x180, s42                                  // 000000004480: 80322AFF 00000180
	s_cmp_lt_u32 s50, s43                                      // 000000004488: BF0A2B32
	s_cselect_b32 s55, s55, 0                                  // 00000000448C: 85378037
	s_add_u32 s50, 0x200, s42                                  // 000000004490: 80322AFF 00000200
	s_cmp_lt_u32 s50, s43                                      // 000000004498: BF0A2B32
	s_cselect_b32 s56, s56, 0                                  // 00000000449C: 85388038
	s_add_u32 s50, 0x180, s42                                  // 0000000044A0: 80322AFF 00000180
	s_cmp_lt_u32 s50, s43                                      // 0000000044A8: BF0A2B32
	s_cselect_b32 s57, s57, 0                                  // 0000000044AC: 85398039
	v_mfma_f32_16x16x32_fp8_fp8 v[84:87], a[44:45], a[124:125], v[84:87]// 0000000044B0: D3F30054 1D52F92C
	v_mfma_f32_16x16x32_fp8_fp8 v[84:87], a[46:47], a[126:127], v[84:87]// 0000000044B8: D3F30054 1D52FD2E
	buffer_load_dword v159, v171, s[24:27], 0 offen            // 0000000044C0: E0501000 80069FAB
	s_add_u32 s4, s54, s4                                      // 0000000044C8: 80040436
	s_addc_u32 s5, 0, s5                                       // 0000000044CC: 82050580
	s_sub_u32 s6, s6, s54                                      // 0000000044D0: 80863606
	s_add_u32 s8, s55, s8                                      // 0000000044D4: 80080837
	s_addc_u32 s9, 0, s9                                       // 0000000044D8: 82090980
	s_sub_u32 s10, s10, s55                                    // 0000000044DC: 808A370A
	s_add_u32 s20, s56, s20                                    // 0000000044E0: 80141438
	s_addc_u32 s21, 0, s21                                     // 0000000044E4: 82151580
	s_add_u32 s24, s57, s24                                    // 0000000044E8: 80181839
	s_addc_u32 s25, 0, s25                                     // 0000000044EC: 82191980
	s_sub_u32 s26, s26, s57                                    // 0000000044F0: 809A391A
	v_pk_fma_f32 v[120:121], v[4:5], v[80:81], v[120:121]      // 0000000044F4: D3B04078 1DE2A104
	v_pk_fma_f32 v[122:123], v[4:5], v[82:83], v[122:123]      // 0000000044FC: D3B0407A 1DEAA504
	v_pk_fma_f32 v[124:125], v[4:5], v[84:85], v[124:125]      // 000000004504: D3B0407C 1DF2A904
	v_pk_fma_f32 v[126:127], v[4:5], v[86:87], v[126:127]      // 00000000450C: D3B0407E 1DFAAD04
	s_addk_i32 s42, 0x80                                       // 000000004514: B72A0080
	s_cmp_lt_i32 s42, s43                                      // 000000004518: BF042B2A
	s_cbranch_scc0 label_0889                                  // 00000000451C: BF840001
	s_branch label_02E2                                        // 000000004520: BF82FA59

0000000000004524 <label_0889>:
	s_cmp_eq_u32 s38, 1                                        // 000000004524: BF068126
	s_cbranch_scc1 label_09C8                                  // 000000004528: BF85013D
	v_add_f32_e32 v88, v88, v12                                // 00000000452C: 02B01958
	v_add_f32_e32 v89, v89, v13                                // 000000004530: 02B21B59
	v_perm_b32 v48, v89, v88, s48                              // 000000004534: D1ED0030 00C2B159
	v_add_f32_e32 v90, v90, v14                                // 00000000453C: 02B41D5A
	v_add_f32_e32 v91, v91, v15                                // 000000004540: 02B61F5B
	v_perm_b32 v49, v91, v90, s48                              // 000000004544: D1ED0031 00C2B55B
	v_add_f32_e32 v92, v92, v16                                // 00000000454C: 02B8215C
	v_add_f32_e32 v93, v93, v17                                // 000000004550: 02BA235D
	v_perm_b32 v50, v93, v92, s48                              // 000000004554: D1ED0032 00C2B95D
	v_add_f32_e32 v94, v94, v18                                // 00000000455C: 02BC255E
	v_add_f32_e32 v95, v95, v19                                // 000000004560: 02BE275F
	v_perm_b32 v51, v95, v94, s48                              // 000000004564: D1ED0033 00C2BD5F
	v_add_f32_e32 v96, v96, v12                                // 00000000456C: 02C01960
	v_add_f32_e32 v97, v97, v13                                // 000000004570: 02C21B61
	v_perm_b32 v52, v97, v96, s48                              // 000000004574: D1ED0034 00C2C161
	v_add_f32_e32 v98, v98, v14                                // 00000000457C: 02C41D62
	v_add_f32_e32 v99, v99, v15                                // 000000004580: 02C61F63
	v_perm_b32 v53, v99, v98, s48                              // 000000004584: D1ED0035 00C2C563
	v_add_f32_e32 v100, v100, v16                              // 00000000458C: 02C82164
	v_add_f32_e32 v101, v101, v17                              // 000000004590: 02CA2365
	v_perm_b32 v54, v101, v100, s48                            // 000000004594: D1ED0036 00C2C965
	v_add_f32_e32 v102, v102, v18                              // 00000000459C: 02CC2566
	v_add_f32_e32 v103, v103, v19                              // 0000000045A0: 02CE2767
	v_perm_b32 v55, v103, v102, s48                            // 0000000045A4: D1ED0037 00C2CD67
	v_add_f32_e32 v104, v104, v12                              // 0000000045AC: 02D01968
	v_add_f32_e32 v105, v105, v13                              // 0000000045B0: 02D21B69
	v_perm_b32 v56, v105, v104, s48                            // 0000000045B4: D1ED0038 00C2D169
	v_add_f32_e32 v106, v106, v14                              // 0000000045BC: 02D41D6A
	v_add_f32_e32 v107, v107, v15                              // 0000000045C0: 02D61F6B
	v_perm_b32 v57, v107, v106, s48                            // 0000000045C4: D1ED0039 00C2D56B
	v_add_f32_e32 v108, v108, v16                              // 0000000045CC: 02D8216C
	v_add_f32_e32 v109, v109, v17                              // 0000000045D0: 02DA236D
	v_perm_b32 v58, v109, v108, s48                            // 0000000045D4: D1ED003A 00C2D96D
	v_add_f32_e32 v110, v110, v18                              // 0000000045DC: 02DC256E
	v_add_f32_e32 v111, v111, v19                              // 0000000045E0: 02DE276F
	v_perm_b32 v59, v111, v110, s48                            // 0000000045E4: D1ED003B 00C2DD6F
	v_add_f32_e32 v112, v112, v12                              // 0000000045EC: 02E01970
	v_add_f32_e32 v113, v113, v13                              // 0000000045F0: 02E21B71
	v_perm_b32 v60, v113, v112, s48                            // 0000000045F4: D1ED003C 00C2E171
	v_add_f32_e32 v114, v114, v14                              // 0000000045FC: 02E41D72
	v_add_f32_e32 v115, v115, v15                              // 000000004600: 02E61F73
	v_perm_b32 v61, v115, v114, s48                            // 000000004604: D1ED003D 00C2E573
	v_add_f32_e32 v116, v116, v16                              // 00000000460C: 02E82174
	v_add_f32_e32 v117, v117, v17                              // 000000004610: 02EA2375
	v_perm_b32 v62, v117, v116, s48                            // 000000004614: D1ED003E 00C2E975
	v_add_f32_e32 v118, v118, v18                              // 00000000461C: 02EC2576
	v_add_f32_e32 v119, v119, v19                              // 000000004620: 02EE2777
	v_perm_b32 v63, v119, v118, s48                            // 000000004624: D1ED003F 00C2ED77
	v_add_f32_e32 v120, v120, v12                              // 00000000462C: 02F01978
	v_add_f32_e32 v121, v121, v13                              // 000000004630: 02F21B79
	v_perm_b32 v64, v121, v120, s48                            // 000000004634: D1ED0040 00C2F179
	v_add_f32_e32 v122, v122, v14                              // 00000000463C: 02F41D7A
	v_add_f32_e32 v123, v123, v15                              // 000000004640: 02F61F7B
	v_perm_b32 v65, v123, v122, s48                            // 000000004644: D1ED0041 00C2F57B
	v_add_f32_e32 v124, v124, v16                              // 00000000464C: 02F8217C
	v_add_f32_e32 v125, v125, v17                              // 000000004650: 02FA237D
	v_perm_b32 v66, v125, v124, s48                            // 000000004654: D1ED0042 00C2F97D
	v_add_f32_e32 v126, v126, v18                              // 00000000465C: 02FC257E
	v_add_f32_e32 v127, v127, v19                              // 000000004660: 02FE277F
	v_perm_b32 v67, v127, v126, s48                            // 000000004664: D1ED0043 00C2FD7F
	v_lshrrev_b32_e32 v4, 4, v0                                // 00000000466C: 20080084
	v_mul_u32_u24_e32 v46, 34, v4                              // 000000004670: 105C08A2
	v_and_b32_e32 v4, 15, v0                                   // 000000004674: 2608008F
	v_mul_lo_u32 v5, 2, v4                                     // 000000004678: D2850005 00020882
	v_add_u32_e32 v46, v5, v46                                 // 000000004680: 685C5D05
	s_mul_i32 s50, s47, 0x110                                  // 000000004684: 9232FF2F 00000110
	v_add_u32_e32 v46, s50, v46                                // 00000000468C: 685C5C32
	v_lshlrev_b32_e32 v46, 2, v46                              // 000000004690: 245C5C82
	v_lshrrev_b32_e32 v4, 1, v0                                // 000000004694: 20080081
	v_mul_u32_u24_e32 v36, 34, v4                              // 000000004698: 104808A2
	v_and_b32_e32 v5, 1, v0                                    // 00000000469C: 260A0081
	v_add_u32_e32 v36, v5, v36                                 // 0000000046A0: 68484905
	s_mul_i32 s50, s47, 2                                      // 0000000046A4: 9232822F
	v_add_u32_e32 v36, s50, v36                                // 0000000046A8: 68484832
	v_lshlrev_b32_e32 v36, 2, v36                              // 0000000046AC: 24484882
	s_waitcnt vmcnt(0) expcnt(0) lgkmcnt(0)                    // 0000000046B0: BF8C0000
	s_barrier                                                  // 0000000046B4: BF8A0000
	ds_write_b64 v46, v[48:49]                                 // 0000000046B8: D89A0000 0000302E
	ds_write_b64 v46, v[50:51] offset:544                      // 0000000046C0: D89A0220 0000322E
	ds_write_b64 v46, v[52:53] offset:4352                     // 0000000046C8: D89A1100 0000342E
	ds_write_b64 v46, v[54:55] offset:4896                     // 0000000046D0: D89A1320 0000362E
	ds_write_b64 v46, v[56:57] offset:8704                     // 0000000046D8: D89A2200 0000382E
	ds_write_b64 v46, v[58:59] offset:9248                     // 0000000046E0: D89A2420 00003A2E
	ds_write_b64 v46, v[60:61] offset:13056                    // 0000000046E8: D89A3300 00003C2E
	ds_write_b64 v46, v[62:63] offset:13600                    // 0000000046F0: D89A3520 00003E2E
	ds_write_b64 v46, v[64:65] offset:17408                    // 0000000046F8: D89A4400 0000402E
	ds_write_b64 v46, v[66:67] offset:17952                    // 000000004700: D89A4620 0000422E
	s_waitcnt lgkmcnt(0)                                       // 000000004708: BF8CC07F
	s_barrier                                                  // 00000000470C: BF8A0000
	ds_read_b32 v48, v36                                       // 000000004710: D86C0000 30000024
	ds_read_b32 v49, v36 offset:32                             // 000000004718: D86C0020 31000024
	ds_read_b32 v50, v36 offset:64                             // 000000004720: D86C0040 32000024
	ds_read_b32 v51, v36 offset:96                             // 000000004728: D86C0060 33000024
	ds_read_b32 v52, v36 offset:4352                           // 000000004730: D86C1100 34000024
	ds_read_b32 v53, v36 offset:4384                           // 000000004738: D86C1120 35000024
	ds_read_b32 v54, v36 offset:4416                           // 000000004740: D86C1140 36000024
	ds_read_b32 v55, v36 offset:4448                           // 000000004748: D86C1160 37000024
	ds_read_b32 v56, v36 offset:8704                           // 000000004750: D86C2200 38000024
	ds_read_b32 v57, v36 offset:8736                           // 000000004758: D86C2220 39000024
	ds_read_b32 v58, v36 offset:8768                           // 000000004760: D86C2240 3A000024
	ds_read_b32 v59, v36 offset:8800                           // 000000004768: D86C2260 3B000024
	ds_read_b32 v60, v36 offset:13056                          // 000000004770: D86C3300 3C000024
	ds_read_b32 v61, v36 offset:13088                          // 000000004778: D86C3320 3D000024
	ds_read_b32 v62, v36 offset:13120                          // 000000004780: D86C3340 3E000024
	ds_read_b32 v63, v36 offset:13152                          // 000000004788: D86C3360 3F000024
	ds_read_b32 v64, v36 offset:17408                          // 000000004790: D86C4400 40000024
	ds_read_b32 v65, v36 offset:17440                          // 000000004798: D86C4420 41000024
	ds_read_b32 v66, v36 offset:17472                          // 0000000047A0: D86C4440 42000024
	ds_read_b32 v67, v36 offset:17504                          // 0000000047A8: D86C4460 43000024
	s_waitcnt lgkmcnt(0)                                       // 0000000047B0: BF8CC07F
	s_barrier                                                  // 0000000047B4: BF8A0000
	s_mul_i32 s50, s37, 4                                      // 0000000047B8: 92328425
	s_mul_i32 s51, s37, 8                                      // 0000000047BC: 92338825
	s_mul_i32 s52, s37, 16                                     // 0000000047C0: 92349025
	v_mov_b32_e32 v4, v25                                      // 0000000047C4: 7E080319
	v_mov_b32_e32 v5, 0                                        // 0000000047C8: 7E0A0280
	v_mov_b32_e32 v7, 0                                        // 0000000047CC: 7E0E0280
	v_mov_b32_e32 v9, 0                                        // 0000000047D0: 7E120280
	v_mov_b32_e32 v11, 0                                       // 0000000047D4: 7E160280
	v_mov_b32_e32 v6, v4                                       // 0000000047D8: 7E0C0304
	v_add_u32_e64 v10, v4, s51                                 // 0000000047DC: D134000A 00006704
	s_cmp_ge_u32 s77, s32                                      // 0000000047E4: BF09204D
	s_cbranch_scc1 label_0A2C                                  // 0000000047E8: BF8500F1
	global_atomic_pk_add_bf16 v6, v48, s[80:81]                // 0000000047EC: DD488000 00503006
	v_add_u32_e64 v8, v6, s50                                  // 0000000047F4: D1340008 00006506
	s_add_i32 s77, s77, 4                                      // 0000000047FC: 814D844D
	s_cmp_ge_u32 s77, s32                                      // 000000004800: BF09204D
	s_cbranch_scc1 label_0A2C                                  // 000000004804: BF8500EA
	global_atomic_pk_add_bf16 v8, v49, s[80:81]                // 000000004808: DD488000 00503108
	s_add_i32 s77, s77, 4                                      // 000000004810: 814D844D
	s_cmp_ge_u32 s77, s32                                      // 000000004814: BF09204D
	s_cbranch_scc1 label_0A2C                                  // 000000004818: BF8500E5
	global_atomic_pk_add_bf16 v10, v50, s[80:81]               // 00000000481C: DD488000 0050320A
	v_add_u32_e64 v12, v10, s50                                // 000000004824: D134000C 0000650A
	s_add_i32 s77, s77, 4                                      // 00000000482C: 814D844D
	s_cmp_ge_u32 s77, s32                                      // 000000004830: BF09204D
	s_cbranch_scc1 label_0A2C                                  // 000000004834: BF8500DE
	global_atomic_pk_add_bf16 v12, v51, s[80:81]               // 000000004838: DD488000 0050330C
	s_add_i32 s77, s77, 4                                      // 000000004840: 814D844D
	v_add_u32_e64 v4, v4, s52                                  // 000000004844: D1340004 00006904
	v_mov_b32_e32 v6, v4                                       // 00000000484C: 7E0C0304
	v_add_u32_e64 v10, v4, s51                                 // 000000004850: D134000A 00006704
	s_cmp_ge_u32 s77, s32                                      // 000000004858: BF09204D
	s_cbranch_scc1 label_0A2C                                  // 00000000485C: BF8500D4
	global_atomic_pk_add_bf16 v6, v52, s[80:81]                // 000000004860: DD488000 00503406
	v_add_u32_e64 v8, v6, s50                                  // 000000004868: D1340008 00006506
	s_add_i32 s77, s77, 4                                      // 000000004870: 814D844D
	s_cmp_ge_u32 s77, s32                                      // 000000004874: BF09204D
	s_cbranch_scc1 label_0A2C                                  // 000000004878: BF8500CD
	global_atomic_pk_add_bf16 v8, v53, s[80:81]                // 00000000487C: DD488000 00503508
	s_add_i32 s77, s77, 4                                      // 000000004884: 814D844D
	s_cmp_ge_u32 s77, s32                                      // 000000004888: BF09204D
	s_cbranch_scc1 label_0A2C                                  // 00000000488C: BF8500C8
	global_atomic_pk_add_bf16 v10, v54, s[80:81]               // 000000004890: DD488000 0050360A
	v_add_u32_e64 v12, v10, s50                                // 000000004898: D134000C 0000650A
	s_add_i32 s77, s77, 4                                      // 0000000048A0: 814D844D
	s_cmp_ge_u32 s77, s32                                      // 0000000048A4: BF09204D
	s_cbranch_scc1 label_0A2C                                  // 0000000048A8: BF8500C1
	global_atomic_pk_add_bf16 v12, v55, s[80:81]               // 0000000048AC: DD488000 0050370C
	s_add_i32 s77, s77, 4                                      // 0000000048B4: 814D844D
	v_add_u32_e64 v4, v4, s52                                  // 0000000048B8: D1340004 00006904
	v_mov_b32_e32 v6, v4                                       // 0000000048C0: 7E0C0304
	v_add_u32_e64 v10, v4, s51                                 // 0000000048C4: D134000A 00006704
	s_cmp_ge_u32 s77, s32                                      // 0000000048CC: BF09204D
	s_cbranch_scc1 label_0A2C                                  // 0000000048D0: BF8500B7
	global_atomic_pk_add_bf16 v6, v56, s[80:81]                // 0000000048D4: DD488000 00503806
	v_add_u32_e64 v8, v6, s50                                  // 0000000048DC: D1340008 00006506
	s_add_i32 s77, s77, 4                                      // 0000000048E4: 814D844D
	s_cmp_ge_u32 s77, s32                                      // 0000000048E8: BF09204D
	s_cbranch_scc1 label_0A2C                                  // 0000000048EC: BF8500B0
	global_atomic_pk_add_bf16 v8, v57, s[80:81]                // 0000000048F0: DD488000 00503908
	s_add_i32 s77, s77, 4                                      // 0000000048F8: 814D844D
	s_cmp_ge_u32 s77, s32                                      // 0000000048FC: BF09204D
	s_cbranch_scc1 label_0A2C                                  // 000000004900: BF8500AB
	global_atomic_pk_add_bf16 v10, v58, s[80:81]               // 000000004904: DD488000 00503A0A
	v_add_u32_e64 v12, v10, s50                                // 00000000490C: D134000C 0000650A
	s_add_i32 s77, s77, 4                                      // 000000004914: 814D844D
	s_cmp_ge_u32 s77, s32                                      // 000000004918: BF09204D
	s_cbranch_scc1 label_0A2C                                  // 00000000491C: BF8500A4
	global_atomic_pk_add_bf16 v12, v59, s[80:81]               // 000000004920: DD488000 00503B0C
	s_add_i32 s77, s77, 4                                      // 000000004928: 814D844D
	v_add_u32_e64 v4, v4, s52                                  // 00000000492C: D1340004 00006904
	v_mov_b32_e32 v6, v4                                       // 000000004934: 7E0C0304
	v_add_u32_e64 v10, v4, s51                                 // 000000004938: D134000A 00006704
	s_cmp_ge_u32 s77, s32                                      // 000000004940: BF09204D
	s_cbranch_scc1 label_0A2C                                  // 000000004944: BF85009A
	global_atomic_pk_add_bf16 v6, v60, s[80:81]                // 000000004948: DD488000 00503C06
	v_add_u32_e64 v8, v6, s50                                  // 000000004950: D1340008 00006506
	s_add_i32 s77, s77, 4                                      // 000000004958: 814D844D
	s_cmp_ge_u32 s77, s32                                      // 00000000495C: BF09204D
	s_cbranch_scc1 label_0A2C                                  // 000000004960: BF850093
	global_atomic_pk_add_bf16 v8, v61, s[80:81]                // 000000004964: DD488000 00503D08
	s_add_i32 s77, s77, 4                                      // 00000000496C: 814D844D
	s_cmp_ge_u32 s77, s32                                      // 000000004970: BF09204D
	s_cbranch_scc1 label_0A2C                                  // 000000004974: BF85008E
	global_atomic_pk_add_bf16 v10, v62, s[80:81]               // 000000004978: DD488000 00503E0A
	v_add_u32_e64 v12, v10, s50                                // 000000004980: D134000C 0000650A
	s_add_i32 s77, s77, 4                                      // 000000004988: 814D844D
	s_cmp_ge_u32 s77, s32                                      // 00000000498C: BF09204D
	s_cbranch_scc1 label_0A2C                                  // 000000004990: BF850087
	global_atomic_pk_add_bf16 v12, v63, s[80:81]               // 000000004994: DD488000 00503F0C
	s_add_i32 s77, s77, 4                                      // 00000000499C: 814D844D
	v_add_u32_e64 v4, v4, s52                                  // 0000000049A0: D1340004 00006904
	v_mov_b32_e32 v6, v4                                       // 0000000049A8: 7E0C0304
	v_add_u32_e64 v10, v4, s51                                 // 0000000049AC: D134000A 00006704
	s_cmp_ge_u32 s77, s32                                      // 0000000049B4: BF09204D
	s_cbranch_scc1 label_0A2C                                  // 0000000049B8: BF85007D
	global_atomic_pk_add_bf16 v6, v64, s[80:81]                // 0000000049BC: DD488000 00504006
	v_add_u32_e64 v8, v6, s50                                  // 0000000049C4: D1340008 00006506
	s_add_i32 s77, s77, 4                                      // 0000000049CC: 814D844D
	s_cmp_ge_u32 s77, s32                                      // 0000000049D0: BF09204D
	s_cbranch_scc1 label_0A2C                                  // 0000000049D4: BF850076
	global_atomic_pk_add_bf16 v8, v65, s[80:81]                // 0000000049D8: DD488000 00504108
	s_add_i32 s77, s77, 4                                      // 0000000049E0: 814D844D
	s_cmp_ge_u32 s77, s32                                      // 0000000049E4: BF09204D
	s_cbranch_scc1 label_0A2C                                  // 0000000049E8: BF850071
	global_atomic_pk_add_bf16 v10, v66, s[80:81]               // 0000000049EC: DD488000 0050420A
	v_add_u32_e64 v12, v10, s50                                // 0000000049F4: D134000C 0000650A
	s_add_i32 s77, s77, 4                                      // 0000000049FC: 814D844D
	s_cmp_ge_u32 s77, s32                                      // 000000004A00: BF09204D
	s_cbranch_scc1 label_0A2C                                  // 000000004A04: BF85006A
	global_atomic_pk_add_bf16 v12, v67, s[80:81]               // 000000004A08: DD488000 0050430C
	s_add_i32 s77, s77, 4                                      // 000000004A10: 814D844D
	v_add_u32_e64 v4, v4, s52                                  // 000000004A14: D1340004 00006904
	s_branch label_0A2C                                        // 000000004A1C: BF820064

0000000000004a20 <label_09C8>:
	v_add_f32_e32 v88, v88, v12                                // 000000004A20: 02B01958
	v_add_f32_e32 v89, v89, v13                                // 000000004A24: 02B21B59
	v_perm_b32 v48, v89, v88, s48                              // 000000004A28: D1ED0030 00C2B159
	v_add_f32_e32 v90, v90, v14                                // 000000004A30: 02B41D5A
	v_add_f32_e32 v91, v91, v15                                // 000000004A34: 02B61F5B
	v_perm_b32 v49, v91, v90, s48                              // 000000004A38: D1ED0031 00C2B55B
	buffer_store_dwordx2 v[48:49], v20, s[16:19], 0 offen      // 000000004A40: E0741000 80043014
	v_add_f32_e32 v92, v92, v16                                // 000000004A48: 02B8215C
	v_add_f32_e32 v93, v93, v17                                // 000000004A4C: 02BA235D
	v_perm_b32 v50, v93, v92, s48                              // 000000004A50: D1ED0032 00C2B95D
	v_add_f32_e32 v94, v94, v18                                // 000000004A58: 02BC255E
	v_add_f32_e32 v95, v95, v19                                // 000000004A5C: 02BE275F
	v_perm_b32 v51, v95, v94, s48                              // 000000004A60: D1ED0033 00C2BD5F
	buffer_store_dwordx2 v[50:51], v20, s[16:19], 0 offen offset:32// 000000004A68: E0741020 80043214
	v_add_f32_e32 v96, v96, v12                                // 000000004A70: 02C01960
	v_add_f32_e32 v97, v97, v13                                // 000000004A74: 02C21B61
	v_perm_b32 v52, v97, v96, s48                              // 000000004A78: D1ED0034 00C2C161
	v_add_f32_e32 v98, v98, v14                                // 000000004A80: 02C41D62
	v_add_f32_e32 v99, v99, v15                                // 000000004A84: 02C61F63
	v_perm_b32 v53, v99, v98, s48                              // 000000004A88: D1ED0035 00C2C563
	buffer_store_dwordx2 v[52:53], v21, s[16:19], 0 offen      // 000000004A90: E0741000 80043415
	v_add_f32_e32 v100, v100, v16                              // 000000004A98: 02C82164
	v_add_f32_e32 v101, v101, v17                              // 000000004A9C: 02CA2365
	v_perm_b32 v54, v101, v100, s48                            // 000000004AA0: D1ED0036 00C2C965
	v_add_f32_e32 v102, v102, v18                              // 000000004AA8: 02CC2566
	v_add_f32_e32 v103, v103, v19                              // 000000004AAC: 02CE2767
	v_perm_b32 v55, v103, v102, s48                            // 000000004AB0: D1ED0037 00C2CD67
	buffer_store_dwordx2 v[54:55], v21, s[16:19], 0 offen offset:32// 000000004AB8: E0741020 80043615
	v_add_f32_e32 v104, v104, v12                              // 000000004AC0: 02D01968
	v_add_f32_e32 v105, v105, v13                              // 000000004AC4: 02D21B69
	v_perm_b32 v56, v105, v104, s48                            // 000000004AC8: D1ED0038 00C2D169
	v_add_f32_e32 v106, v106, v14                              // 000000004AD0: 02D41D6A
	v_add_f32_e32 v107, v107, v15                              // 000000004AD4: 02D61F6B
	v_perm_b32 v57, v107, v106, s48                            // 000000004AD8: D1ED0039 00C2D56B
	buffer_store_dwordx2 v[56:57], v22, s[16:19], 0 offen      // 000000004AE0: E0741000 80043816
	v_add_f32_e32 v108, v108, v16                              // 000000004AE8: 02D8216C
	v_add_f32_e32 v109, v109, v17                              // 000000004AEC: 02DA236D
	v_perm_b32 v58, v109, v108, s48                            // 000000004AF0: D1ED003A 00C2D96D
	v_add_f32_e32 v110, v110, v18                              // 000000004AF8: 02DC256E
	v_add_f32_e32 v111, v111, v19                              // 000000004AFC: 02DE276F
	v_perm_b32 v59, v111, v110, s48                            // 000000004B00: D1ED003B 00C2DD6F
	buffer_store_dwordx2 v[58:59], v22, s[16:19], 0 offen offset:32// 000000004B08: E0741020 80043A16
	v_add_f32_e32 v112, v112, v12                              // 000000004B10: 02E01970
	v_add_f32_e32 v113, v113, v13                              // 000000004B14: 02E21B71
	v_perm_b32 v60, v113, v112, s48                            // 000000004B18: D1ED003C 00C2E171
	v_add_f32_e32 v114, v114, v14                              // 000000004B20: 02E41D72
	v_add_f32_e32 v115, v115, v15                              // 000000004B24: 02E61F73
	v_perm_b32 v61, v115, v114, s48                            // 000000004B28: D1ED003D 00C2E573
	buffer_store_dwordx2 v[60:61], v23, s[16:19], 0 offen      // 000000004B30: E0741000 80043C17
	v_add_f32_e32 v116, v116, v16                              // 000000004B38: 02E82174
	v_add_f32_e32 v117, v117, v17                              // 000000004B3C: 02EA2375
	v_perm_b32 v62, v117, v116, s48                            // 000000004B40: D1ED003E 00C2E975
	v_add_f32_e32 v118, v118, v18                              // 000000004B48: 02EC2576
	v_add_f32_e32 v119, v119, v19                              // 000000004B4C: 02EE2777
	v_perm_b32 v63, v119, v118, s48                            // 000000004B50: D1ED003F 00C2ED77
	buffer_store_dwordx2 v[62:63], v23, s[16:19], 0 offen offset:32// 000000004B58: E0741020 80043E17
	v_add_f32_e32 v120, v120, v12                              // 000000004B60: 02F01978
	v_add_f32_e32 v121, v121, v13                              // 000000004B64: 02F21B79
	v_perm_b32 v64, v121, v120, s48                            // 000000004B68: D1ED0040 00C2F179
	v_add_f32_e32 v122, v122, v14                              // 000000004B70: 02F41D7A
	v_add_f32_e32 v123, v123, v15                              // 000000004B74: 02F61F7B
	v_perm_b32 v65, v123, v122, s48                            // 000000004B78: D1ED0041 00C2F57B
	buffer_store_dwordx2 v[64:65], v24, s[16:19], 0 offen      // 000000004B80: E0741000 80044018
	v_add_f32_e32 v124, v124, v16                              // 000000004B88: 02F8217C
	v_add_f32_e32 v125, v125, v17                              // 000000004B8C: 02FA237D
	v_perm_b32 v66, v125, v124, s48                            // 000000004B90: D1ED0042 00C2F97D
	v_add_f32_e32 v126, v126, v18                              // 000000004B98: 02FC257E
	v_add_f32_e32 v127, v127, v19                              // 000000004B9C: 02FE277F
	v_perm_b32 v67, v127, v126, s48                            // 000000004BA0: D1ED0043 00C2FD7F
	buffer_store_dwordx2 v[66:67], v24, s[16:19], 0 offen offset:32// 000000004BA8: E0741020 80044218

0000000000004bb0 <label_0A2C>:
	s_waitcnt vmcnt(0) expcnt(0) lgkmcnt(0)                    // 000000004BB0: BF8C0000
	s_endpgm                                                   // 000000004BB4: BF810000
